;; amdgpu-corpus repo=pytorch/pytorch kind=compiled arch=gfx906 opt=O3
	.amdgcn_target "amdgcn-amd-amdhsa--gfx906"
	.amdhsa_code_object_version 6
	.section	.text._ZN2at6native12_GLOBAL__N_116_elemwise_kernelILi256ELi4EZNS1_43_compute_linear_combination_internal_kernelIhEEvRNS_14TensorIteratorEiiiEUliE_EEviT1_,"axG",@progbits,_ZN2at6native12_GLOBAL__N_116_elemwise_kernelILi256ELi4EZNS1_43_compute_linear_combination_internal_kernelIhEEvRNS_14TensorIteratorEiiiEUliE_EEviT1_,comdat
	.globl	_ZN2at6native12_GLOBAL__N_116_elemwise_kernelILi256ELi4EZNS1_43_compute_linear_combination_internal_kernelIhEEvRNS_14TensorIteratorEiiiEUliE_EEviT1_ ; -- Begin function _ZN2at6native12_GLOBAL__N_116_elemwise_kernelILi256ELi4EZNS1_43_compute_linear_combination_internal_kernelIhEEvRNS_14TensorIteratorEiiiEUliE_EEviT1_
	.p2align	8
	.type	_ZN2at6native12_GLOBAL__N_116_elemwise_kernelILi256ELi4EZNS1_43_compute_linear_combination_internal_kernelIhEEvRNS_14TensorIteratorEiiiEUliE_EEviT1_,@function
_ZN2at6native12_GLOBAL__N_116_elemwise_kernelILi256ELi4EZNS1_43_compute_linear_combination_internal_kernelIhEEvRNS_14TensorIteratorEiiiEUliE_EEviT1_: ; @_ZN2at6native12_GLOBAL__N_116_elemwise_kernelILi256ELi4EZNS1_43_compute_linear_combination_internal_kernelIhEEvRNS_14TensorIteratorEiiiEUliE_EEviT1_
; %bb.0:
	s_load_dword s39, s[4:5], 0x0
	s_load_dwordx8 s[8:15], s[4:5], 0x8
	v_lshl_or_b32 v7, s6, 10, v0
	s_load_dwordx4 s[24:27], s[4:5], 0xcc
	s_load_dwordx2 s[6:7], s[4:5], 0xdc
	s_load_dwordx4 s[16:19], s[4:5], 0x1a8
	s_add_u32 s33, s4, 8
	s_addc_u32 s38, s5, 0
	s_waitcnt lgkmcnt(0)
	v_sub_co_u32_e64 v0, s[0:1], s8, 1
	s_xor_b64 s[30:31], s[0:1], -1
	v_readfirstlane_b32 s0, v0
	s_load_dwordx2 s[2:3], s[4:5], 0x1a0
	s_load_dwordx4 s[20:23], s[4:5], 0x190
	s_min_u32 s15, s0, 15
	s_cmp_gt_u32 s8, 1
	v_cmp_lt_u32_e64 s[0:1], 1, v0
	s_cselect_b64 s[28:29], -1, 0
	s_cmp_gt_i32 s16, 0
	v_cndmask_b32_e64 v0, 0, 1, s[0:1]
	s_mov_b64 s[36:37], -1
	s_cselect_b64 s[4:5], -1, 0
	v_cmp_gt_i32_e32 vcc, s39, v7
	v_cmp_ne_u32_e64 s[0:1], 1, v0
	s_and_saveexec_b64 s[34:35], vcc
	s_cbranch_execnz .LBB0_4
; %bb.1:
	s_or_b64 exec, exec, s[34:35]
	v_cmp_gt_i32_e32 vcc, s39, v7
	s_and_saveexec_b64 s[34:35], vcc
	s_cbranch_execnz .LBB0_18
.LBB0_2:
	s_or_b64 exec, exec, s[34:35]
	v_cmp_gt_i32_e32 vcc, s39, v7
	s_and_saveexec_b64 s[34:35], vcc
	s_cbranch_execnz .LBB0_32
.LBB0_3:
	s_or_b64 exec, exec, s[34:35]
	v_cmp_gt_i32_e32 vcc, s39, v7
	s_and_saveexec_b64 s[34:35], vcc
	s_cbranch_execnz .LBB0_46
	s_branch .LBB0_59
.LBB0_4:
	s_and_b64 vcc, exec, s[0:1]
                                        ; implicit-def: $vgpr2
                                        ; implicit-def: $vgpr4
                                        ; implicit-def: $vgpr0
	s_cbranch_vccnz .LBB0_11
; %bb.5:
	v_mov_b32_e32 v2, 0
	s_andn2_b64 vcc, exec, s[30:31]
	v_mov_b32_e32 v4, 0
	v_mov_b32_e32 v0, 0
	s_cbranch_vccnz .LBB0_10
; %bb.6:
	s_add_i32 s8, s15, 1
	s_and_b32 s8, s8, 30
	s_add_u32 s36, s33, 0xffffffe8
	s_addc_u32 s37, s38, -1
	v_mov_b32_e32 v0, 0
	v_mov_b32_e32 v4, 0
	;; [unrolled: 1-line block ×4, first 2 shown]
.LBB0_7:                                ; =>This Inner Loop Header: Depth=1
	s_load_dwordx4 s[40:43], s[36:37], 0x1c
	s_load_dwordx2 s[48:49], s[36:37], 0x2c
	s_load_dwordx2 s[50:51], s[36:37], 0xec
	s_load_dwordx4 s[44:47], s[36:37], 0xdc
	s_add_u32 s36, s36, 24
	s_waitcnt lgkmcnt(0)
	v_mul_hi_u32 v3, s41, v1
	s_addc_u32 s37, s37, 0
	s_add_i32 s8, s8, -2
	s_cmp_lg_u32 s8, 0
	v_add_u32_e32 v3, v1, v3
	v_lshrrev_b32_e32 v3, s42, v3
	v_mul_lo_u32 v5, v3, s40
	v_mul_hi_u32 v6, s48, v3
	v_sub_u32_e32 v5, v1, v5
	v_add_u32_e32 v1, v3, v6
	v_lshrrev_b32_e32 v1, s49, v1
	v_mul_lo_u32 v9, v1, s43
	v_mul_lo_u32 v6, v5, s44
	;; [unrolled: 1-line block ×4, first 2 shown]
	v_sub_u32_e32 v3, v3, v9
	v_mul_lo_u32 v9, v3, s47
	v_mul_lo_u32 v10, v3, s50
	;; [unrolled: 1-line block ×3, first 2 shown]
	v_add3_u32 v2, v6, v2, v9
	v_add3_u32 v4, v8, v4, v10
	;; [unrolled: 1-line block ×3, first 2 shown]
	s_cbranch_scc1 .LBB0_7
; %bb.8:
	s_bitcmp1_b32 s15, 0
	s_cselect_b64 s[40:41], -1, 0
	s_and_b64 vcc, exec, s[40:41]
	s_cbranch_vccnz .LBB0_10
; %bb.9:
	s_load_dwordx2 s[40:41], s[36:37], 0x1c
	s_load_dword s8, s[36:37], 0x24
	s_load_dwordx2 s[42:43], s[36:37], 0xdc
	s_waitcnt lgkmcnt(0)
	v_mul_hi_u32 v3, s41, v1
	v_add_u32_e32 v3, v1, v3
	v_lshrrev_b32_e32 v3, s8, v3
	v_mul_lo_u32 v3, v3, s40
	s_load_dword s8, s[36:37], 0xe4
	v_sub_u32_e32 v1, v1, v3
	v_mad_u64_u32 v[2:3], s[36:37], v1, s42, v[2:3]
	v_mad_u64_u32 v[4:5], s[36:37], v1, s43, v[4:5]
	s_waitcnt lgkmcnt(0)
	v_mad_u64_u32 v[0:1], s[36:37], v1, s8, v[0:1]
.LBB0_10:
	s_mov_b64 s[36:37], 0
.LBB0_11:
	s_andn2_b64 vcc, exec, s[36:37]
	s_cbranch_vccnz .LBB0_14
; %bb.12:
	v_mul_hi_u32 v0, s10, v7
	s_andn2_b64 vcc, exec, s[28:29]
	v_add_u32_e32 v0, v7, v0
	v_lshrrev_b32_e32 v1, s11, v0
	v_mul_lo_u32 v0, v1, s9
	v_sub_u32_e32 v0, v7, v0
	v_mul_lo_u32 v2, v0, s24
	v_mul_lo_u32 v4, v0, s25
	;; [unrolled: 1-line block ×3, first 2 shown]
	s_cbranch_vccnz .LBB0_14
; %bb.13:
	v_mul_hi_u32 v3, s13, v1
	v_add_u32_e32 v3, v1, v3
	v_lshrrev_b32_e32 v3, s14, v3
	v_mul_lo_u32 v3, v3, s12
	v_sub_u32_e32 v1, v1, v3
	v_mad_u64_u32 v[2:3], s[36:37], v1, s27, v[2:3]
	v_mad_u64_u32 v[4:5], s[36:37], v1, s6, v[4:5]
	;; [unrolled: 1-line block ×3, first 2 shown]
.LBB0_14:
	s_andn2_b64 vcc, exec, s[4:5]
	s_cbranch_vccnz .LBB0_17
; %bb.15:
	s_waitcnt lgkmcnt(0)
	global_load_ubyte v8, v2, s[20:21]
	v_mov_b32_e32 v3, s21
	v_add_co_u32_e32 v1, vcc, s20, v2
	v_addc_co_u32_e32 v2, vcc, 0, v3, vcc
	v_mov_b32_e32 v5, s23
	v_add_co_u32_e32 v3, vcc, s22, v4
	v_addc_co_u32_e32 v4, vcc, 0, v5, vcc
	v_mov_b32_e32 v6, s3
	v_add_co_u32_e32 v5, vcc, s2, v0
	s_ashr_i32 s19, s18, 31
	s_ashr_i32 s36, s17, 31
	v_addc_co_u32_e32 v6, vcc, 0, v6, vcc
	s_mov_b32 s8, s17
	v_mov_b32_e32 v0, s19
	v_mov_b32_e32 v9, s36
	s_mov_b32 s19, s16
.LBB0_16:                               ; =>This Inner Loop Header: Depth=1
	global_load_ubyte v10, v[3:4], off
	global_load_ubyte v11, v[5:6], off
	v_add_co_u32_e32 v5, vcc, s18, v5
	v_addc_co_u32_e32 v6, vcc, v6, v0, vcc
	s_add_i32 s19, s19, -1
	v_add_co_u32_e32 v3, vcc, s8, v3
	v_addc_co_u32_e32 v4, vcc, v4, v9, vcc
	s_cmp_lg_u32 s19, 0
	s_waitcnt vmcnt(0)
	v_mad_legacy_u16 v8, v11, v10, v8
	global_store_byte v[1:2], v8, off
	s_cbranch_scc1 .LBB0_16
.LBB0_17:
	v_add_u32_e32 v7, 0x100, v7
	s_or_b64 exec, exec, s[34:35]
	v_cmp_gt_i32_e32 vcc, s39, v7
	s_and_saveexec_b64 s[34:35], vcc
	s_cbranch_execz .LBB0_2
.LBB0_18:
	s_and_b64 vcc, exec, s[0:1]
	s_cbranch_vccnz .LBB0_25
; %bb.19:
	v_mov_b32_e32 v2, 0
	s_andn2_b64 vcc, exec, s[30:31]
	v_mov_b32_e32 v4, 0
	v_mov_b32_e32 v0, 0
	s_cbranch_vccnz .LBB0_24
; %bb.20:
	s_add_i32 s8, s15, 1
	s_and_b32 s8, s8, 30
	s_add_u32 s36, s33, 0xffffffe8
	s_addc_u32 s37, s38, -1
	v_mov_b32_e32 v0, 0
	v_mov_b32_e32 v4, 0
	;; [unrolled: 1-line block ×4, first 2 shown]
.LBB0_21:                               ; =>This Inner Loop Header: Depth=1
	s_load_dwordx4 s[40:43], s[36:37], 0x1c
	s_load_dwordx2 s[48:49], s[36:37], 0x2c
	s_load_dwordx2 s[50:51], s[36:37], 0xec
	s_load_dwordx4 s[44:47], s[36:37], 0xdc
	s_add_u32 s36, s36, 24
	s_waitcnt lgkmcnt(0)
	v_mul_hi_u32 v3, s41, v1
	s_addc_u32 s37, s37, 0
	s_add_i32 s8, s8, -2
	s_cmp_eq_u32 s8, 0
	v_add_u32_e32 v3, v1, v3
	v_lshrrev_b32_e32 v3, s42, v3
	v_mul_lo_u32 v5, v3, s40
	v_mul_hi_u32 v6, s48, v3
	v_sub_u32_e32 v5, v1, v5
	v_add_u32_e32 v1, v3, v6
	v_lshrrev_b32_e32 v1, s49, v1
	v_mul_lo_u32 v9, v1, s43
	v_mul_lo_u32 v6, v5, s44
	;; [unrolled: 1-line block ×4, first 2 shown]
	v_sub_u32_e32 v3, v3, v9
	v_mul_lo_u32 v9, v3, s47
	v_mul_lo_u32 v10, v3, s50
	;; [unrolled: 1-line block ×3, first 2 shown]
	v_add3_u32 v2, v6, v2, v9
	v_add3_u32 v4, v8, v4, v10
	;; [unrolled: 1-line block ×3, first 2 shown]
	s_cbranch_scc0 .LBB0_21
; %bb.22:
	s_bitcmp1_b32 s15, 0
	s_cselect_b64 s[40:41], -1, 0
	s_and_b64 vcc, exec, s[40:41]
	s_cbranch_vccnz .LBB0_24
; %bb.23:
	s_load_dwordx2 s[40:41], s[36:37], 0x1c
	s_load_dword s8, s[36:37], 0x24
	s_load_dwordx2 s[42:43], s[36:37], 0xdc
	s_waitcnt lgkmcnt(0)
	v_mul_hi_u32 v3, s41, v1
	v_add_u32_e32 v3, v1, v3
	v_lshrrev_b32_e32 v3, s8, v3
	v_mul_lo_u32 v3, v3, s40
	s_load_dword s8, s[36:37], 0xe4
	v_sub_u32_e32 v1, v1, v3
	v_mad_u64_u32 v[2:3], s[36:37], v1, s42, v[2:3]
	v_mad_u64_u32 v[4:5], s[36:37], v1, s43, v[4:5]
	s_waitcnt lgkmcnt(0)
	v_mad_u64_u32 v[0:1], s[36:37], v1, s8, v[0:1]
.LBB0_24:
	s_cbranch_execz .LBB0_26
	s_branch .LBB0_28
.LBB0_25:
                                        ; implicit-def: $vgpr2
                                        ; implicit-def: $vgpr4
                                        ; implicit-def: $vgpr0
.LBB0_26:
	v_mul_hi_u32 v0, s10, v7
	s_andn2_b64 vcc, exec, s[28:29]
	v_add_u32_e32 v0, v7, v0
	v_lshrrev_b32_e32 v1, s11, v0
	v_mul_lo_u32 v0, v1, s9
	v_sub_u32_e32 v0, v7, v0
	v_mul_lo_u32 v2, v0, s24
	v_mul_lo_u32 v4, v0, s25
	;; [unrolled: 1-line block ×3, first 2 shown]
	s_cbranch_vccnz .LBB0_28
; %bb.27:
	v_mul_hi_u32 v3, s13, v1
	v_add_u32_e32 v3, v1, v3
	v_lshrrev_b32_e32 v3, s14, v3
	v_mul_lo_u32 v3, v3, s12
	v_sub_u32_e32 v1, v1, v3
	v_mad_u64_u32 v[2:3], s[36:37], v1, s27, v[2:3]
	v_mad_u64_u32 v[4:5], s[36:37], v1, s6, v[4:5]
	;; [unrolled: 1-line block ×3, first 2 shown]
.LBB0_28:
	s_andn2_b64 vcc, exec, s[4:5]
	s_cbranch_vccnz .LBB0_31
; %bb.29:
	s_waitcnt lgkmcnt(0)
	global_load_ubyte v8, v2, s[20:21]
	v_mov_b32_e32 v3, s21
	v_add_co_u32_e32 v1, vcc, s20, v2
	v_addc_co_u32_e32 v2, vcc, 0, v3, vcc
	v_mov_b32_e32 v5, s23
	v_add_co_u32_e32 v3, vcc, s22, v4
	v_addc_co_u32_e32 v4, vcc, 0, v5, vcc
	v_mov_b32_e32 v6, s3
	v_add_co_u32_e32 v5, vcc, s2, v0
	s_ashr_i32 s19, s18, 31
	s_ashr_i32 s36, s17, 31
	v_addc_co_u32_e32 v6, vcc, 0, v6, vcc
	s_mov_b32 s8, s17
	v_mov_b32_e32 v0, s19
	v_mov_b32_e32 v9, s36
	s_mov_b32 s19, s16
.LBB0_30:                               ; =>This Inner Loop Header: Depth=1
	global_load_ubyte v10, v[3:4], off
	global_load_ubyte v11, v[5:6], off
	v_add_co_u32_e32 v5, vcc, s18, v5
	v_addc_co_u32_e32 v6, vcc, v6, v0, vcc
	s_add_i32 s19, s19, -1
	v_add_co_u32_e32 v3, vcc, s8, v3
	v_addc_co_u32_e32 v4, vcc, v4, v9, vcc
	s_cmp_lg_u32 s19, 0
	s_waitcnt vmcnt(0)
	v_mad_legacy_u16 v8, v11, v10, v8
	global_store_byte v[1:2], v8, off
	s_cbranch_scc1 .LBB0_30
.LBB0_31:
	v_add_u32_e32 v7, 0x100, v7
	s_or_b64 exec, exec, s[34:35]
	v_cmp_gt_i32_e32 vcc, s39, v7
	s_and_saveexec_b64 s[34:35], vcc
	s_cbranch_execz .LBB0_3
.LBB0_32:
	s_and_b64 vcc, exec, s[0:1]
	s_cbranch_vccnz .LBB0_39
; %bb.33:
	v_mov_b32_e32 v2, 0
	s_andn2_b64 vcc, exec, s[30:31]
	v_mov_b32_e32 v4, 0
	v_mov_b32_e32 v0, 0
	s_cbranch_vccnz .LBB0_38
; %bb.34:
	s_add_i32 s8, s15, 1
	s_and_b32 s8, s8, 30
	s_add_u32 s36, s33, 0xffffffe8
	s_addc_u32 s37, s38, -1
	v_mov_b32_e32 v0, 0
	v_mov_b32_e32 v4, 0
	;; [unrolled: 1-line block ×4, first 2 shown]
.LBB0_35:                               ; =>This Inner Loop Header: Depth=1
	s_load_dwordx4 s[40:43], s[36:37], 0x1c
	s_load_dwordx2 s[48:49], s[36:37], 0x2c
	s_load_dwordx2 s[50:51], s[36:37], 0xec
	s_load_dwordx4 s[44:47], s[36:37], 0xdc
	s_add_u32 s36, s36, 24
	s_waitcnt lgkmcnt(0)
	v_mul_hi_u32 v3, s41, v1
	s_addc_u32 s37, s37, 0
	s_add_i32 s8, s8, -2
	s_cmp_eq_u32 s8, 0
	v_add_u32_e32 v3, v1, v3
	v_lshrrev_b32_e32 v3, s42, v3
	v_mul_lo_u32 v5, v3, s40
	v_mul_hi_u32 v6, s48, v3
	v_sub_u32_e32 v5, v1, v5
	v_add_u32_e32 v1, v3, v6
	v_lshrrev_b32_e32 v1, s49, v1
	v_mul_lo_u32 v9, v1, s43
	v_mul_lo_u32 v6, v5, s44
	v_mul_lo_u32 v8, v5, s45
	v_mul_lo_u32 v5, v5, s46
	v_sub_u32_e32 v3, v3, v9
	v_mul_lo_u32 v9, v3, s47
	v_mul_lo_u32 v10, v3, s50
	;; [unrolled: 1-line block ×3, first 2 shown]
	v_add3_u32 v2, v6, v2, v9
	v_add3_u32 v4, v8, v4, v10
	;; [unrolled: 1-line block ×3, first 2 shown]
	s_cbranch_scc0 .LBB0_35
; %bb.36:
	s_bitcmp1_b32 s15, 0
	s_cselect_b64 s[40:41], -1, 0
	s_and_b64 vcc, exec, s[40:41]
	s_cbranch_vccnz .LBB0_38
; %bb.37:
	s_load_dwordx2 s[40:41], s[36:37], 0x1c
	s_load_dword s8, s[36:37], 0x24
	s_load_dwordx2 s[42:43], s[36:37], 0xdc
	s_waitcnt lgkmcnt(0)
	v_mul_hi_u32 v3, s41, v1
	v_add_u32_e32 v3, v1, v3
	v_lshrrev_b32_e32 v3, s8, v3
	v_mul_lo_u32 v3, v3, s40
	s_load_dword s8, s[36:37], 0xe4
	v_sub_u32_e32 v1, v1, v3
	v_mad_u64_u32 v[2:3], s[36:37], v1, s42, v[2:3]
	v_mad_u64_u32 v[4:5], s[36:37], v1, s43, v[4:5]
	s_waitcnt lgkmcnt(0)
	v_mad_u64_u32 v[0:1], s[36:37], v1, s8, v[0:1]
.LBB0_38:
	s_cbranch_execz .LBB0_40
	s_branch .LBB0_42
.LBB0_39:
                                        ; implicit-def: $vgpr2
                                        ; implicit-def: $vgpr4
                                        ; implicit-def: $vgpr0
.LBB0_40:
	v_mul_hi_u32 v0, s10, v7
	s_andn2_b64 vcc, exec, s[28:29]
	v_add_u32_e32 v0, v7, v0
	v_lshrrev_b32_e32 v1, s11, v0
	v_mul_lo_u32 v0, v1, s9
	v_sub_u32_e32 v0, v7, v0
	v_mul_lo_u32 v2, v0, s24
	v_mul_lo_u32 v4, v0, s25
	;; [unrolled: 1-line block ×3, first 2 shown]
	s_cbranch_vccnz .LBB0_42
; %bb.41:
	v_mul_hi_u32 v3, s13, v1
	v_add_u32_e32 v3, v1, v3
	v_lshrrev_b32_e32 v3, s14, v3
	v_mul_lo_u32 v3, v3, s12
	v_sub_u32_e32 v1, v1, v3
	v_mad_u64_u32 v[2:3], s[36:37], v1, s27, v[2:3]
	v_mad_u64_u32 v[4:5], s[36:37], v1, s6, v[4:5]
	v_mad_u64_u32 v[0:1], s[36:37], v1, s7, v[0:1]
.LBB0_42:
	s_andn2_b64 vcc, exec, s[4:5]
	s_cbranch_vccnz .LBB0_45
; %bb.43:
	s_waitcnt lgkmcnt(0)
	global_load_ubyte v8, v2, s[20:21]
	v_mov_b32_e32 v3, s21
	v_add_co_u32_e32 v1, vcc, s20, v2
	v_addc_co_u32_e32 v2, vcc, 0, v3, vcc
	v_mov_b32_e32 v5, s23
	v_add_co_u32_e32 v3, vcc, s22, v4
	v_addc_co_u32_e32 v4, vcc, 0, v5, vcc
	v_mov_b32_e32 v6, s3
	v_add_co_u32_e32 v5, vcc, s2, v0
	s_ashr_i32 s19, s18, 31
	s_ashr_i32 s36, s17, 31
	v_addc_co_u32_e32 v6, vcc, 0, v6, vcc
	s_mov_b32 s8, s17
	v_mov_b32_e32 v0, s19
	v_mov_b32_e32 v9, s36
	s_mov_b32 s19, s16
.LBB0_44:                               ; =>This Inner Loop Header: Depth=1
	global_load_ubyte v10, v[3:4], off
	global_load_ubyte v11, v[5:6], off
	v_add_co_u32_e32 v5, vcc, s18, v5
	v_addc_co_u32_e32 v6, vcc, v6, v0, vcc
	s_add_i32 s19, s19, -1
	v_add_co_u32_e32 v3, vcc, s8, v3
	v_addc_co_u32_e32 v4, vcc, v4, v9, vcc
	s_cmp_lg_u32 s19, 0
	s_waitcnt vmcnt(0)
	v_mad_legacy_u16 v8, v11, v10, v8
	global_store_byte v[1:2], v8, off
	s_cbranch_scc1 .LBB0_44
.LBB0_45:
	v_add_u32_e32 v7, 0x100, v7
	s_or_b64 exec, exec, s[34:35]
	v_cmp_gt_i32_e32 vcc, s39, v7
	s_and_saveexec_b64 s[34:35], vcc
	s_cbranch_execz .LBB0_59
.LBB0_46:
	s_and_b64 vcc, exec, s[0:1]
	s_cbranch_vccnz .LBB0_53
; %bb.47:
	v_mov_b32_e32 v2, 0
	s_andn2_b64 vcc, exec, s[30:31]
	v_mov_b32_e32 v4, 0
	v_mov_b32_e32 v0, 0
	s_cbranch_vccnz .LBB0_52
; %bb.48:
	s_add_i32 s0, s15, 1
	s_and_b32 s8, s0, 30
	s_add_u32 s0, s33, 0xffffffe8
	s_addc_u32 s1, s38, -1
	v_mov_b32_e32 v0, 0
	v_mov_b32_e32 v4, 0
	;; [unrolled: 1-line block ×4, first 2 shown]
.LBB0_49:                               ; =>This Inner Loop Header: Depth=1
	s_load_dwordx4 s[36:39], s[0:1], 0x1c
	s_load_dwordx2 s[30:31], s[0:1], 0x2c
	s_load_dwordx2 s[34:35], s[0:1], 0xec
	s_load_dwordx4 s[40:43], s[0:1], 0xdc
	s_add_u32 s0, s0, 24
	s_waitcnt lgkmcnt(0)
	v_mul_hi_u32 v3, s37, v1
	s_addc_u32 s1, s1, 0
	s_add_i32 s8, s8, -2
	s_cmp_eq_u32 s8, 0
	v_add_u32_e32 v3, v1, v3
	v_lshrrev_b32_e32 v3, s38, v3
	v_mul_lo_u32 v5, v3, s36
	v_mul_hi_u32 v6, s30, v3
	v_sub_u32_e32 v5, v1, v5
	v_add_u32_e32 v1, v3, v6
	v_lshrrev_b32_e32 v1, s31, v1
	v_mul_lo_u32 v9, v1, s39
	v_mul_lo_u32 v6, v5, s40
	;; [unrolled: 1-line block ×4, first 2 shown]
	v_sub_u32_e32 v3, v3, v9
	v_mul_lo_u32 v9, v3, s43
	v_mul_lo_u32 v10, v3, s34
	;; [unrolled: 1-line block ×3, first 2 shown]
	v_add3_u32 v2, v6, v2, v9
	v_add3_u32 v4, v8, v4, v10
	;; [unrolled: 1-line block ×3, first 2 shown]
	s_cbranch_scc0 .LBB0_49
; %bb.50:
	s_bitcmp1_b32 s15, 0
	s_cselect_b64 s[30:31], -1, 0
	s_and_b64 vcc, exec, s[30:31]
	s_cbranch_vccnz .LBB0_52
; %bb.51:
	s_load_dwordx2 s[30:31], s[0:1], 0x1c
	s_load_dword s8, s[0:1], 0x24
	s_load_dwordx2 s[34:35], s[0:1], 0xdc
	s_waitcnt lgkmcnt(0)
	v_mul_hi_u32 v3, s31, v1
	v_add_u32_e32 v3, v1, v3
	v_lshrrev_b32_e32 v3, s8, v3
	v_mul_lo_u32 v3, v3, s30
	s_load_dword s8, s[0:1], 0xe4
	v_sub_u32_e32 v1, v1, v3
	v_mad_u64_u32 v[2:3], s[0:1], v1, s34, v[2:3]
	v_mad_u64_u32 v[4:5], s[0:1], v1, s35, v[4:5]
	s_waitcnt lgkmcnt(0)
	v_mad_u64_u32 v[0:1], s[0:1], v1, s8, v[0:1]
.LBB0_52:
	s_cbranch_execz .LBB0_54
	s_branch .LBB0_56
.LBB0_53:
                                        ; implicit-def: $vgpr2
                                        ; implicit-def: $vgpr4
                                        ; implicit-def: $vgpr0
.LBB0_54:
	v_mul_hi_u32 v0, s10, v7
	s_andn2_b64 vcc, exec, s[28:29]
	v_add_u32_e32 v0, v7, v0
	v_lshrrev_b32_e32 v1, s11, v0
	v_mul_lo_u32 v0, v1, s9
	v_sub_u32_e32 v0, v7, v0
	v_mul_lo_u32 v2, v0, s24
	v_mul_lo_u32 v4, v0, s25
	;; [unrolled: 1-line block ×3, first 2 shown]
	s_cbranch_vccnz .LBB0_56
; %bb.55:
	v_mul_hi_u32 v3, s13, v1
	v_add_u32_e32 v3, v1, v3
	v_lshrrev_b32_e32 v3, s14, v3
	v_mul_lo_u32 v3, v3, s12
	v_sub_u32_e32 v1, v1, v3
	v_mad_u64_u32 v[2:3], s[0:1], v1, s27, v[2:3]
	v_mad_u64_u32 v[4:5], s[0:1], v1, s6, v[4:5]
	;; [unrolled: 1-line block ×3, first 2 shown]
.LBB0_56:
	s_andn2_b64 vcc, exec, s[4:5]
	s_cbranch_vccnz .LBB0_59
; %bb.57:
	s_waitcnt lgkmcnt(0)
	global_load_ubyte v7, v2, s[20:21]
	v_mov_b32_e32 v3, s21
	v_add_co_u32_e32 v1, vcc, s20, v2
	v_addc_co_u32_e32 v2, vcc, 0, v3, vcc
	v_mov_b32_e32 v5, s23
	v_add_co_u32_e32 v3, vcc, s22, v4
	v_addc_co_u32_e32 v4, vcc, 0, v5, vcc
	v_mov_b32_e32 v6, s3
	v_add_co_u32_e32 v5, vcc, s2, v0
	s_ashr_i32 s1, s18, 31
	s_ashr_i32 s2, s17, 31
	v_addc_co_u32_e32 v6, vcc, 0, v6, vcc
	s_mov_b32 s0, s17
	v_mov_b32_e32 v0, s1
	v_mov_b32_e32 v8, s2
.LBB0_58:                               ; =>This Inner Loop Header: Depth=1
	global_load_ubyte v9, v[3:4], off
	global_load_ubyte v10, v[5:6], off
	v_add_co_u32_e32 v5, vcc, s18, v5
	v_addc_co_u32_e32 v6, vcc, v6, v0, vcc
	s_add_i32 s16, s16, -1
	v_add_co_u32_e32 v3, vcc, s0, v3
	v_addc_co_u32_e32 v4, vcc, v4, v8, vcc
	s_cmp_lg_u32 s16, 0
	s_waitcnt vmcnt(0)
	v_mad_legacy_u16 v7, v10, v9, v7
	global_store_byte v[1:2], v7, off
	s_cbranch_scc1 .LBB0_58
.LBB0_59:
	s_endpgm
	.section	.rodata,"a",@progbits
	.p2align	6, 0x0
	.amdhsa_kernel _ZN2at6native12_GLOBAL__N_116_elemwise_kernelILi256ELi4EZNS1_43_compute_linear_combination_internal_kernelIhEEvRNS_14TensorIteratorEiiiEUliE_EEviT1_
		.amdhsa_group_segment_fixed_size 0
		.amdhsa_private_segment_fixed_size 0
		.amdhsa_kernarg_size 440
		.amdhsa_user_sgpr_count 6
		.amdhsa_user_sgpr_private_segment_buffer 1
		.amdhsa_user_sgpr_dispatch_ptr 0
		.amdhsa_user_sgpr_queue_ptr 0
		.amdhsa_user_sgpr_kernarg_segment_ptr 1
		.amdhsa_user_sgpr_dispatch_id 0
		.amdhsa_user_sgpr_flat_scratch_init 0
		.amdhsa_user_sgpr_private_segment_size 0
		.amdhsa_uses_dynamic_stack 0
		.amdhsa_system_sgpr_private_segment_wavefront_offset 0
		.amdhsa_system_sgpr_workgroup_id_x 1
		.amdhsa_system_sgpr_workgroup_id_y 0
		.amdhsa_system_sgpr_workgroup_id_z 0
		.amdhsa_system_sgpr_workgroup_info 0
		.amdhsa_system_vgpr_workitem_id 0
		.amdhsa_next_free_vgpr 12
		.amdhsa_next_free_sgpr 52
		.amdhsa_reserve_vcc 1
		.amdhsa_reserve_flat_scratch 0
		.amdhsa_float_round_mode_32 0
		.amdhsa_float_round_mode_16_64 0
		.amdhsa_float_denorm_mode_32 3
		.amdhsa_float_denorm_mode_16_64 3
		.amdhsa_dx10_clamp 1
		.amdhsa_ieee_mode 1
		.amdhsa_fp16_overflow 0
		.amdhsa_exception_fp_ieee_invalid_op 0
		.amdhsa_exception_fp_denorm_src 0
		.amdhsa_exception_fp_ieee_div_zero 0
		.amdhsa_exception_fp_ieee_overflow 0
		.amdhsa_exception_fp_ieee_underflow 0
		.amdhsa_exception_fp_ieee_inexact 0
		.amdhsa_exception_int_div_zero 0
	.end_amdhsa_kernel
	.section	.text._ZN2at6native12_GLOBAL__N_116_elemwise_kernelILi256ELi4EZNS1_43_compute_linear_combination_internal_kernelIhEEvRNS_14TensorIteratorEiiiEUliE_EEviT1_,"axG",@progbits,_ZN2at6native12_GLOBAL__N_116_elemwise_kernelILi256ELi4EZNS1_43_compute_linear_combination_internal_kernelIhEEvRNS_14TensorIteratorEiiiEUliE_EEviT1_,comdat
.Lfunc_end0:
	.size	_ZN2at6native12_GLOBAL__N_116_elemwise_kernelILi256ELi4EZNS1_43_compute_linear_combination_internal_kernelIhEEvRNS_14TensorIteratorEiiiEUliE_EEviT1_, .Lfunc_end0-_ZN2at6native12_GLOBAL__N_116_elemwise_kernelILi256ELi4EZNS1_43_compute_linear_combination_internal_kernelIhEEvRNS_14TensorIteratorEiiiEUliE_EEviT1_
                                        ; -- End function
	.set _ZN2at6native12_GLOBAL__N_116_elemwise_kernelILi256ELi4EZNS1_43_compute_linear_combination_internal_kernelIhEEvRNS_14TensorIteratorEiiiEUliE_EEviT1_.num_vgpr, 12
	.set _ZN2at6native12_GLOBAL__N_116_elemwise_kernelILi256ELi4EZNS1_43_compute_linear_combination_internal_kernelIhEEvRNS_14TensorIteratorEiiiEUliE_EEviT1_.num_agpr, 0
	.set _ZN2at6native12_GLOBAL__N_116_elemwise_kernelILi256ELi4EZNS1_43_compute_linear_combination_internal_kernelIhEEvRNS_14TensorIteratorEiiiEUliE_EEviT1_.numbered_sgpr, 52
	.set _ZN2at6native12_GLOBAL__N_116_elemwise_kernelILi256ELi4EZNS1_43_compute_linear_combination_internal_kernelIhEEvRNS_14TensorIteratorEiiiEUliE_EEviT1_.num_named_barrier, 0
	.set _ZN2at6native12_GLOBAL__N_116_elemwise_kernelILi256ELi4EZNS1_43_compute_linear_combination_internal_kernelIhEEvRNS_14TensorIteratorEiiiEUliE_EEviT1_.private_seg_size, 0
	.set _ZN2at6native12_GLOBAL__N_116_elemwise_kernelILi256ELi4EZNS1_43_compute_linear_combination_internal_kernelIhEEvRNS_14TensorIteratorEiiiEUliE_EEviT1_.uses_vcc, 1
	.set _ZN2at6native12_GLOBAL__N_116_elemwise_kernelILi256ELi4EZNS1_43_compute_linear_combination_internal_kernelIhEEvRNS_14TensorIteratorEiiiEUliE_EEviT1_.uses_flat_scratch, 0
	.set _ZN2at6native12_GLOBAL__N_116_elemwise_kernelILi256ELi4EZNS1_43_compute_linear_combination_internal_kernelIhEEvRNS_14TensorIteratorEiiiEUliE_EEviT1_.has_dyn_sized_stack, 0
	.set _ZN2at6native12_GLOBAL__N_116_elemwise_kernelILi256ELi4EZNS1_43_compute_linear_combination_internal_kernelIhEEvRNS_14TensorIteratorEiiiEUliE_EEviT1_.has_recursion, 0
	.set _ZN2at6native12_GLOBAL__N_116_elemwise_kernelILi256ELi4EZNS1_43_compute_linear_combination_internal_kernelIhEEvRNS_14TensorIteratorEiiiEUliE_EEviT1_.has_indirect_call, 0
	.section	.AMDGPU.csdata,"",@progbits
; Kernel info:
; codeLenInByte = 2760
; TotalNumSgprs: 56
; NumVgprs: 12
; ScratchSize: 0
; MemoryBound: 0
; FloatMode: 240
; IeeeMode: 1
; LDSByteSize: 0 bytes/workgroup (compile time only)
; SGPRBlocks: 6
; VGPRBlocks: 2
; NumSGPRsForWavesPerEU: 56
; NumVGPRsForWavesPerEU: 12
; Occupancy: 10
; WaveLimiterHint : 1
; COMPUTE_PGM_RSRC2:SCRATCH_EN: 0
; COMPUTE_PGM_RSRC2:USER_SGPR: 6
; COMPUTE_PGM_RSRC2:TRAP_HANDLER: 0
; COMPUTE_PGM_RSRC2:TGID_X_EN: 1
; COMPUTE_PGM_RSRC2:TGID_Y_EN: 0
; COMPUTE_PGM_RSRC2:TGID_Z_EN: 0
; COMPUTE_PGM_RSRC2:TIDIG_COMP_CNT: 0
	.section	.text._ZN2at6native12_GLOBAL__N_116_elemwise_kernelILi256ELi4EZNS1_43_compute_linear_combination_internal_kernelIaEEvRNS_14TensorIteratorEiiiEUliE_EEviT1_,"axG",@progbits,_ZN2at6native12_GLOBAL__N_116_elemwise_kernelILi256ELi4EZNS1_43_compute_linear_combination_internal_kernelIaEEvRNS_14TensorIteratorEiiiEUliE_EEviT1_,comdat
	.globl	_ZN2at6native12_GLOBAL__N_116_elemwise_kernelILi256ELi4EZNS1_43_compute_linear_combination_internal_kernelIaEEvRNS_14TensorIteratorEiiiEUliE_EEviT1_ ; -- Begin function _ZN2at6native12_GLOBAL__N_116_elemwise_kernelILi256ELi4EZNS1_43_compute_linear_combination_internal_kernelIaEEvRNS_14TensorIteratorEiiiEUliE_EEviT1_
	.p2align	8
	.type	_ZN2at6native12_GLOBAL__N_116_elemwise_kernelILi256ELi4EZNS1_43_compute_linear_combination_internal_kernelIaEEvRNS_14TensorIteratorEiiiEUliE_EEviT1_,@function
_ZN2at6native12_GLOBAL__N_116_elemwise_kernelILi256ELi4EZNS1_43_compute_linear_combination_internal_kernelIaEEvRNS_14TensorIteratorEiiiEUliE_EEviT1_: ; @_ZN2at6native12_GLOBAL__N_116_elemwise_kernelILi256ELi4EZNS1_43_compute_linear_combination_internal_kernelIaEEvRNS_14TensorIteratorEiiiEUliE_EEviT1_
; %bb.0:
	s_load_dword s39, s[4:5], 0x0
	s_load_dwordx8 s[8:15], s[4:5], 0x8
	v_lshl_or_b32 v7, s6, 10, v0
	s_load_dwordx4 s[24:27], s[4:5], 0xcc
	s_load_dwordx2 s[6:7], s[4:5], 0xdc
	s_load_dwordx4 s[16:19], s[4:5], 0x1a8
	s_add_u32 s33, s4, 8
	s_addc_u32 s38, s5, 0
	s_waitcnt lgkmcnt(0)
	v_sub_co_u32_e64 v0, s[0:1], s8, 1
	s_xor_b64 s[30:31], s[0:1], -1
	v_readfirstlane_b32 s0, v0
	s_load_dwordx2 s[2:3], s[4:5], 0x1a0
	s_load_dwordx4 s[20:23], s[4:5], 0x190
	s_min_u32 s15, s0, 15
	s_cmp_gt_u32 s8, 1
	v_cmp_lt_u32_e64 s[0:1], 1, v0
	s_cselect_b64 s[28:29], -1, 0
	s_cmp_gt_i32 s16, 0
	v_cndmask_b32_e64 v0, 0, 1, s[0:1]
	s_mov_b64 s[36:37], -1
	s_cselect_b64 s[4:5], -1, 0
	v_cmp_gt_i32_e32 vcc, s39, v7
	v_cmp_ne_u32_e64 s[0:1], 1, v0
	s_and_saveexec_b64 s[34:35], vcc
	s_cbranch_execnz .LBB1_4
; %bb.1:
	s_or_b64 exec, exec, s[34:35]
	v_cmp_gt_i32_e32 vcc, s39, v7
	s_and_saveexec_b64 s[34:35], vcc
	s_cbranch_execnz .LBB1_18
.LBB1_2:
	s_or_b64 exec, exec, s[34:35]
	v_cmp_gt_i32_e32 vcc, s39, v7
	s_and_saveexec_b64 s[34:35], vcc
	s_cbranch_execnz .LBB1_32
.LBB1_3:
	s_or_b64 exec, exec, s[34:35]
	v_cmp_gt_i32_e32 vcc, s39, v7
	s_and_saveexec_b64 s[34:35], vcc
	s_cbranch_execnz .LBB1_46
	s_branch .LBB1_59
.LBB1_4:
	s_and_b64 vcc, exec, s[0:1]
                                        ; implicit-def: $vgpr2
                                        ; implicit-def: $vgpr4
                                        ; implicit-def: $vgpr0
	s_cbranch_vccnz .LBB1_11
; %bb.5:
	v_mov_b32_e32 v2, 0
	s_andn2_b64 vcc, exec, s[30:31]
	v_mov_b32_e32 v4, 0
	v_mov_b32_e32 v0, 0
	s_cbranch_vccnz .LBB1_10
; %bb.6:
	s_add_i32 s8, s15, 1
	s_and_b32 s8, s8, 30
	s_add_u32 s36, s33, 0xffffffe8
	s_addc_u32 s37, s38, -1
	v_mov_b32_e32 v0, 0
	v_mov_b32_e32 v4, 0
	;; [unrolled: 1-line block ×4, first 2 shown]
.LBB1_7:                                ; =>This Inner Loop Header: Depth=1
	s_load_dwordx4 s[40:43], s[36:37], 0x1c
	s_load_dwordx2 s[48:49], s[36:37], 0x2c
	s_load_dwordx2 s[50:51], s[36:37], 0xec
	s_load_dwordx4 s[44:47], s[36:37], 0xdc
	s_add_u32 s36, s36, 24
	s_waitcnt lgkmcnt(0)
	v_mul_hi_u32 v3, s41, v1
	s_addc_u32 s37, s37, 0
	s_add_i32 s8, s8, -2
	s_cmp_lg_u32 s8, 0
	v_add_u32_e32 v3, v1, v3
	v_lshrrev_b32_e32 v3, s42, v3
	v_mul_lo_u32 v5, v3, s40
	v_mul_hi_u32 v6, s48, v3
	v_sub_u32_e32 v5, v1, v5
	v_add_u32_e32 v1, v3, v6
	v_lshrrev_b32_e32 v1, s49, v1
	v_mul_lo_u32 v9, v1, s43
	v_mul_lo_u32 v6, v5, s44
	;; [unrolled: 1-line block ×4, first 2 shown]
	v_sub_u32_e32 v3, v3, v9
	v_mul_lo_u32 v9, v3, s47
	v_mul_lo_u32 v10, v3, s50
	;; [unrolled: 1-line block ×3, first 2 shown]
	v_add3_u32 v2, v6, v2, v9
	v_add3_u32 v4, v8, v4, v10
	;; [unrolled: 1-line block ×3, first 2 shown]
	s_cbranch_scc1 .LBB1_7
; %bb.8:
	s_bitcmp1_b32 s15, 0
	s_cselect_b64 s[40:41], -1, 0
	s_and_b64 vcc, exec, s[40:41]
	s_cbranch_vccnz .LBB1_10
; %bb.9:
	s_load_dwordx2 s[40:41], s[36:37], 0x1c
	s_load_dword s8, s[36:37], 0x24
	s_load_dwordx2 s[42:43], s[36:37], 0xdc
	s_waitcnt lgkmcnt(0)
	v_mul_hi_u32 v3, s41, v1
	v_add_u32_e32 v3, v1, v3
	v_lshrrev_b32_e32 v3, s8, v3
	v_mul_lo_u32 v3, v3, s40
	s_load_dword s8, s[36:37], 0xe4
	v_sub_u32_e32 v1, v1, v3
	v_mad_u64_u32 v[2:3], s[36:37], v1, s42, v[2:3]
	v_mad_u64_u32 v[4:5], s[36:37], v1, s43, v[4:5]
	s_waitcnt lgkmcnt(0)
	v_mad_u64_u32 v[0:1], s[36:37], v1, s8, v[0:1]
.LBB1_10:
	s_mov_b64 s[36:37], 0
.LBB1_11:
	s_andn2_b64 vcc, exec, s[36:37]
	s_cbranch_vccnz .LBB1_14
; %bb.12:
	v_mul_hi_u32 v0, s10, v7
	s_andn2_b64 vcc, exec, s[28:29]
	v_add_u32_e32 v0, v7, v0
	v_lshrrev_b32_e32 v1, s11, v0
	v_mul_lo_u32 v0, v1, s9
	v_sub_u32_e32 v0, v7, v0
	v_mul_lo_u32 v2, v0, s24
	v_mul_lo_u32 v4, v0, s25
	;; [unrolled: 1-line block ×3, first 2 shown]
	s_cbranch_vccnz .LBB1_14
; %bb.13:
	v_mul_hi_u32 v3, s13, v1
	v_add_u32_e32 v3, v1, v3
	v_lshrrev_b32_e32 v3, s14, v3
	v_mul_lo_u32 v3, v3, s12
	v_sub_u32_e32 v1, v1, v3
	v_mad_u64_u32 v[2:3], s[36:37], v1, s27, v[2:3]
	v_mad_u64_u32 v[4:5], s[36:37], v1, s6, v[4:5]
	v_mad_u64_u32 v[0:1], s[36:37], v1, s7, v[0:1]
.LBB1_14:
	s_andn2_b64 vcc, exec, s[4:5]
	s_cbranch_vccnz .LBB1_17
; %bb.15:
	s_waitcnt lgkmcnt(0)
	global_load_ubyte v8, v2, s[20:21]
	v_mov_b32_e32 v3, s21
	v_add_co_u32_e32 v1, vcc, s20, v2
	v_addc_co_u32_e32 v2, vcc, 0, v3, vcc
	v_mov_b32_e32 v5, s23
	v_add_co_u32_e32 v3, vcc, s22, v4
	v_addc_co_u32_e32 v4, vcc, 0, v5, vcc
	v_mov_b32_e32 v6, s3
	v_add_co_u32_e32 v5, vcc, s2, v0
	s_ashr_i32 s19, s18, 31
	s_ashr_i32 s36, s17, 31
	v_addc_co_u32_e32 v6, vcc, 0, v6, vcc
	s_mov_b32 s8, s17
	v_mov_b32_e32 v0, s19
	v_mov_b32_e32 v9, s36
	s_mov_b32 s19, s16
.LBB1_16:                               ; =>This Inner Loop Header: Depth=1
	global_load_ubyte v10, v[3:4], off
	global_load_ubyte v11, v[5:6], off
	v_add_co_u32_e32 v5, vcc, s18, v5
	v_addc_co_u32_e32 v6, vcc, v6, v0, vcc
	s_add_i32 s19, s19, -1
	v_add_co_u32_e32 v3, vcc, s8, v3
	v_addc_co_u32_e32 v4, vcc, v4, v9, vcc
	s_cmp_lg_u32 s19, 0
	s_waitcnt vmcnt(0)
	v_mad_legacy_u16 v8, v11, v10, v8
	global_store_byte v[1:2], v8, off
	s_cbranch_scc1 .LBB1_16
.LBB1_17:
	v_add_u32_e32 v7, 0x100, v7
	s_or_b64 exec, exec, s[34:35]
	v_cmp_gt_i32_e32 vcc, s39, v7
	s_and_saveexec_b64 s[34:35], vcc
	s_cbranch_execz .LBB1_2
.LBB1_18:
	s_and_b64 vcc, exec, s[0:1]
	s_cbranch_vccnz .LBB1_25
; %bb.19:
	v_mov_b32_e32 v2, 0
	s_andn2_b64 vcc, exec, s[30:31]
	v_mov_b32_e32 v4, 0
	v_mov_b32_e32 v0, 0
	s_cbranch_vccnz .LBB1_24
; %bb.20:
	s_add_i32 s8, s15, 1
	s_and_b32 s8, s8, 30
	s_add_u32 s36, s33, 0xffffffe8
	s_addc_u32 s37, s38, -1
	v_mov_b32_e32 v0, 0
	v_mov_b32_e32 v4, 0
	;; [unrolled: 1-line block ×4, first 2 shown]
.LBB1_21:                               ; =>This Inner Loop Header: Depth=1
	s_load_dwordx4 s[40:43], s[36:37], 0x1c
	s_load_dwordx2 s[48:49], s[36:37], 0x2c
	s_load_dwordx2 s[50:51], s[36:37], 0xec
	s_load_dwordx4 s[44:47], s[36:37], 0xdc
	s_add_u32 s36, s36, 24
	s_waitcnt lgkmcnt(0)
	v_mul_hi_u32 v3, s41, v1
	s_addc_u32 s37, s37, 0
	s_add_i32 s8, s8, -2
	s_cmp_eq_u32 s8, 0
	v_add_u32_e32 v3, v1, v3
	v_lshrrev_b32_e32 v3, s42, v3
	v_mul_lo_u32 v5, v3, s40
	v_mul_hi_u32 v6, s48, v3
	v_sub_u32_e32 v5, v1, v5
	v_add_u32_e32 v1, v3, v6
	v_lshrrev_b32_e32 v1, s49, v1
	v_mul_lo_u32 v9, v1, s43
	v_mul_lo_u32 v6, v5, s44
	;; [unrolled: 1-line block ×4, first 2 shown]
	v_sub_u32_e32 v3, v3, v9
	v_mul_lo_u32 v9, v3, s47
	v_mul_lo_u32 v10, v3, s50
	;; [unrolled: 1-line block ×3, first 2 shown]
	v_add3_u32 v2, v6, v2, v9
	v_add3_u32 v4, v8, v4, v10
	;; [unrolled: 1-line block ×3, first 2 shown]
	s_cbranch_scc0 .LBB1_21
; %bb.22:
	s_bitcmp1_b32 s15, 0
	s_cselect_b64 s[40:41], -1, 0
	s_and_b64 vcc, exec, s[40:41]
	s_cbranch_vccnz .LBB1_24
; %bb.23:
	s_load_dwordx2 s[40:41], s[36:37], 0x1c
	s_load_dword s8, s[36:37], 0x24
	s_load_dwordx2 s[42:43], s[36:37], 0xdc
	s_waitcnt lgkmcnt(0)
	v_mul_hi_u32 v3, s41, v1
	v_add_u32_e32 v3, v1, v3
	v_lshrrev_b32_e32 v3, s8, v3
	v_mul_lo_u32 v3, v3, s40
	s_load_dword s8, s[36:37], 0xe4
	v_sub_u32_e32 v1, v1, v3
	v_mad_u64_u32 v[2:3], s[36:37], v1, s42, v[2:3]
	v_mad_u64_u32 v[4:5], s[36:37], v1, s43, v[4:5]
	s_waitcnt lgkmcnt(0)
	v_mad_u64_u32 v[0:1], s[36:37], v1, s8, v[0:1]
.LBB1_24:
	s_cbranch_execz .LBB1_26
	s_branch .LBB1_28
.LBB1_25:
                                        ; implicit-def: $vgpr2
                                        ; implicit-def: $vgpr4
                                        ; implicit-def: $vgpr0
.LBB1_26:
	v_mul_hi_u32 v0, s10, v7
	s_andn2_b64 vcc, exec, s[28:29]
	v_add_u32_e32 v0, v7, v0
	v_lshrrev_b32_e32 v1, s11, v0
	v_mul_lo_u32 v0, v1, s9
	v_sub_u32_e32 v0, v7, v0
	v_mul_lo_u32 v2, v0, s24
	v_mul_lo_u32 v4, v0, s25
	;; [unrolled: 1-line block ×3, first 2 shown]
	s_cbranch_vccnz .LBB1_28
; %bb.27:
	v_mul_hi_u32 v3, s13, v1
	v_add_u32_e32 v3, v1, v3
	v_lshrrev_b32_e32 v3, s14, v3
	v_mul_lo_u32 v3, v3, s12
	v_sub_u32_e32 v1, v1, v3
	v_mad_u64_u32 v[2:3], s[36:37], v1, s27, v[2:3]
	v_mad_u64_u32 v[4:5], s[36:37], v1, s6, v[4:5]
	;; [unrolled: 1-line block ×3, first 2 shown]
.LBB1_28:
	s_andn2_b64 vcc, exec, s[4:5]
	s_cbranch_vccnz .LBB1_31
; %bb.29:
	s_waitcnt lgkmcnt(0)
	global_load_ubyte v8, v2, s[20:21]
	v_mov_b32_e32 v3, s21
	v_add_co_u32_e32 v1, vcc, s20, v2
	v_addc_co_u32_e32 v2, vcc, 0, v3, vcc
	v_mov_b32_e32 v5, s23
	v_add_co_u32_e32 v3, vcc, s22, v4
	v_addc_co_u32_e32 v4, vcc, 0, v5, vcc
	v_mov_b32_e32 v6, s3
	v_add_co_u32_e32 v5, vcc, s2, v0
	s_ashr_i32 s19, s18, 31
	s_ashr_i32 s36, s17, 31
	v_addc_co_u32_e32 v6, vcc, 0, v6, vcc
	s_mov_b32 s8, s17
	v_mov_b32_e32 v0, s19
	v_mov_b32_e32 v9, s36
	s_mov_b32 s19, s16
.LBB1_30:                               ; =>This Inner Loop Header: Depth=1
	global_load_ubyte v10, v[3:4], off
	global_load_ubyte v11, v[5:6], off
	v_add_co_u32_e32 v5, vcc, s18, v5
	v_addc_co_u32_e32 v6, vcc, v6, v0, vcc
	s_add_i32 s19, s19, -1
	v_add_co_u32_e32 v3, vcc, s8, v3
	v_addc_co_u32_e32 v4, vcc, v4, v9, vcc
	s_cmp_lg_u32 s19, 0
	s_waitcnt vmcnt(0)
	v_mad_legacy_u16 v8, v11, v10, v8
	global_store_byte v[1:2], v8, off
	s_cbranch_scc1 .LBB1_30
.LBB1_31:
	v_add_u32_e32 v7, 0x100, v7
	s_or_b64 exec, exec, s[34:35]
	v_cmp_gt_i32_e32 vcc, s39, v7
	s_and_saveexec_b64 s[34:35], vcc
	s_cbranch_execz .LBB1_3
.LBB1_32:
	s_and_b64 vcc, exec, s[0:1]
	s_cbranch_vccnz .LBB1_39
; %bb.33:
	v_mov_b32_e32 v2, 0
	s_andn2_b64 vcc, exec, s[30:31]
	v_mov_b32_e32 v4, 0
	v_mov_b32_e32 v0, 0
	s_cbranch_vccnz .LBB1_38
; %bb.34:
	s_add_i32 s8, s15, 1
	s_and_b32 s8, s8, 30
	s_add_u32 s36, s33, 0xffffffe8
	s_addc_u32 s37, s38, -1
	v_mov_b32_e32 v0, 0
	v_mov_b32_e32 v4, 0
	v_mov_b32_e32 v2, 0
	v_mov_b32_e32 v1, v7
.LBB1_35:                               ; =>This Inner Loop Header: Depth=1
	s_load_dwordx4 s[40:43], s[36:37], 0x1c
	s_load_dwordx2 s[48:49], s[36:37], 0x2c
	s_load_dwordx2 s[50:51], s[36:37], 0xec
	s_load_dwordx4 s[44:47], s[36:37], 0xdc
	s_add_u32 s36, s36, 24
	s_waitcnt lgkmcnt(0)
	v_mul_hi_u32 v3, s41, v1
	s_addc_u32 s37, s37, 0
	s_add_i32 s8, s8, -2
	s_cmp_eq_u32 s8, 0
	v_add_u32_e32 v3, v1, v3
	v_lshrrev_b32_e32 v3, s42, v3
	v_mul_lo_u32 v5, v3, s40
	v_mul_hi_u32 v6, s48, v3
	v_sub_u32_e32 v5, v1, v5
	v_add_u32_e32 v1, v3, v6
	v_lshrrev_b32_e32 v1, s49, v1
	v_mul_lo_u32 v9, v1, s43
	v_mul_lo_u32 v6, v5, s44
	v_mul_lo_u32 v8, v5, s45
	v_mul_lo_u32 v5, v5, s46
	v_sub_u32_e32 v3, v3, v9
	v_mul_lo_u32 v9, v3, s47
	v_mul_lo_u32 v10, v3, s50
	;; [unrolled: 1-line block ×3, first 2 shown]
	v_add3_u32 v2, v6, v2, v9
	v_add3_u32 v4, v8, v4, v10
	;; [unrolled: 1-line block ×3, first 2 shown]
	s_cbranch_scc0 .LBB1_35
; %bb.36:
	s_bitcmp1_b32 s15, 0
	s_cselect_b64 s[40:41], -1, 0
	s_and_b64 vcc, exec, s[40:41]
	s_cbranch_vccnz .LBB1_38
; %bb.37:
	s_load_dwordx2 s[40:41], s[36:37], 0x1c
	s_load_dword s8, s[36:37], 0x24
	s_load_dwordx2 s[42:43], s[36:37], 0xdc
	s_waitcnt lgkmcnt(0)
	v_mul_hi_u32 v3, s41, v1
	v_add_u32_e32 v3, v1, v3
	v_lshrrev_b32_e32 v3, s8, v3
	v_mul_lo_u32 v3, v3, s40
	s_load_dword s8, s[36:37], 0xe4
	v_sub_u32_e32 v1, v1, v3
	v_mad_u64_u32 v[2:3], s[36:37], v1, s42, v[2:3]
	v_mad_u64_u32 v[4:5], s[36:37], v1, s43, v[4:5]
	s_waitcnt lgkmcnt(0)
	v_mad_u64_u32 v[0:1], s[36:37], v1, s8, v[0:1]
.LBB1_38:
	s_cbranch_execz .LBB1_40
	s_branch .LBB1_42
.LBB1_39:
                                        ; implicit-def: $vgpr2
                                        ; implicit-def: $vgpr4
                                        ; implicit-def: $vgpr0
.LBB1_40:
	v_mul_hi_u32 v0, s10, v7
	s_andn2_b64 vcc, exec, s[28:29]
	v_add_u32_e32 v0, v7, v0
	v_lshrrev_b32_e32 v1, s11, v0
	v_mul_lo_u32 v0, v1, s9
	v_sub_u32_e32 v0, v7, v0
	v_mul_lo_u32 v2, v0, s24
	v_mul_lo_u32 v4, v0, s25
	;; [unrolled: 1-line block ×3, first 2 shown]
	s_cbranch_vccnz .LBB1_42
; %bb.41:
	v_mul_hi_u32 v3, s13, v1
	v_add_u32_e32 v3, v1, v3
	v_lshrrev_b32_e32 v3, s14, v3
	v_mul_lo_u32 v3, v3, s12
	v_sub_u32_e32 v1, v1, v3
	v_mad_u64_u32 v[2:3], s[36:37], v1, s27, v[2:3]
	v_mad_u64_u32 v[4:5], s[36:37], v1, s6, v[4:5]
	;; [unrolled: 1-line block ×3, first 2 shown]
.LBB1_42:
	s_andn2_b64 vcc, exec, s[4:5]
	s_cbranch_vccnz .LBB1_45
; %bb.43:
	s_waitcnt lgkmcnt(0)
	global_load_ubyte v8, v2, s[20:21]
	v_mov_b32_e32 v3, s21
	v_add_co_u32_e32 v1, vcc, s20, v2
	v_addc_co_u32_e32 v2, vcc, 0, v3, vcc
	v_mov_b32_e32 v5, s23
	v_add_co_u32_e32 v3, vcc, s22, v4
	v_addc_co_u32_e32 v4, vcc, 0, v5, vcc
	v_mov_b32_e32 v6, s3
	v_add_co_u32_e32 v5, vcc, s2, v0
	s_ashr_i32 s19, s18, 31
	s_ashr_i32 s36, s17, 31
	v_addc_co_u32_e32 v6, vcc, 0, v6, vcc
	s_mov_b32 s8, s17
	v_mov_b32_e32 v0, s19
	v_mov_b32_e32 v9, s36
	s_mov_b32 s19, s16
.LBB1_44:                               ; =>This Inner Loop Header: Depth=1
	global_load_ubyte v10, v[3:4], off
	global_load_ubyte v11, v[5:6], off
	v_add_co_u32_e32 v5, vcc, s18, v5
	v_addc_co_u32_e32 v6, vcc, v6, v0, vcc
	s_add_i32 s19, s19, -1
	v_add_co_u32_e32 v3, vcc, s8, v3
	v_addc_co_u32_e32 v4, vcc, v4, v9, vcc
	s_cmp_lg_u32 s19, 0
	s_waitcnt vmcnt(0)
	v_mad_legacy_u16 v8, v11, v10, v8
	global_store_byte v[1:2], v8, off
	s_cbranch_scc1 .LBB1_44
.LBB1_45:
	v_add_u32_e32 v7, 0x100, v7
	s_or_b64 exec, exec, s[34:35]
	v_cmp_gt_i32_e32 vcc, s39, v7
	s_and_saveexec_b64 s[34:35], vcc
	s_cbranch_execz .LBB1_59
.LBB1_46:
	s_and_b64 vcc, exec, s[0:1]
	s_cbranch_vccnz .LBB1_53
; %bb.47:
	v_mov_b32_e32 v2, 0
	s_andn2_b64 vcc, exec, s[30:31]
	v_mov_b32_e32 v4, 0
	v_mov_b32_e32 v0, 0
	s_cbranch_vccnz .LBB1_52
; %bb.48:
	s_add_i32 s0, s15, 1
	s_and_b32 s8, s0, 30
	s_add_u32 s0, s33, 0xffffffe8
	s_addc_u32 s1, s38, -1
	v_mov_b32_e32 v0, 0
	v_mov_b32_e32 v4, 0
	;; [unrolled: 1-line block ×4, first 2 shown]
.LBB1_49:                               ; =>This Inner Loop Header: Depth=1
	s_load_dwordx4 s[36:39], s[0:1], 0x1c
	s_load_dwordx2 s[30:31], s[0:1], 0x2c
	s_load_dwordx2 s[34:35], s[0:1], 0xec
	s_load_dwordx4 s[40:43], s[0:1], 0xdc
	s_add_u32 s0, s0, 24
	s_waitcnt lgkmcnt(0)
	v_mul_hi_u32 v3, s37, v1
	s_addc_u32 s1, s1, 0
	s_add_i32 s8, s8, -2
	s_cmp_eq_u32 s8, 0
	v_add_u32_e32 v3, v1, v3
	v_lshrrev_b32_e32 v3, s38, v3
	v_mul_lo_u32 v5, v3, s36
	v_mul_hi_u32 v6, s30, v3
	v_sub_u32_e32 v5, v1, v5
	v_add_u32_e32 v1, v3, v6
	v_lshrrev_b32_e32 v1, s31, v1
	v_mul_lo_u32 v9, v1, s39
	v_mul_lo_u32 v6, v5, s40
	;; [unrolled: 1-line block ×4, first 2 shown]
	v_sub_u32_e32 v3, v3, v9
	v_mul_lo_u32 v9, v3, s43
	v_mul_lo_u32 v10, v3, s34
	;; [unrolled: 1-line block ×3, first 2 shown]
	v_add3_u32 v2, v6, v2, v9
	v_add3_u32 v4, v8, v4, v10
	;; [unrolled: 1-line block ×3, first 2 shown]
	s_cbranch_scc0 .LBB1_49
; %bb.50:
	s_bitcmp1_b32 s15, 0
	s_cselect_b64 s[30:31], -1, 0
	s_and_b64 vcc, exec, s[30:31]
	s_cbranch_vccnz .LBB1_52
; %bb.51:
	s_load_dwordx2 s[30:31], s[0:1], 0x1c
	s_load_dword s8, s[0:1], 0x24
	s_load_dwordx2 s[34:35], s[0:1], 0xdc
	s_waitcnt lgkmcnt(0)
	v_mul_hi_u32 v3, s31, v1
	v_add_u32_e32 v3, v1, v3
	v_lshrrev_b32_e32 v3, s8, v3
	v_mul_lo_u32 v3, v3, s30
	s_load_dword s8, s[0:1], 0xe4
	v_sub_u32_e32 v1, v1, v3
	v_mad_u64_u32 v[2:3], s[0:1], v1, s34, v[2:3]
	v_mad_u64_u32 v[4:5], s[0:1], v1, s35, v[4:5]
	s_waitcnt lgkmcnt(0)
	v_mad_u64_u32 v[0:1], s[0:1], v1, s8, v[0:1]
.LBB1_52:
	s_cbranch_execz .LBB1_54
	s_branch .LBB1_56
.LBB1_53:
                                        ; implicit-def: $vgpr2
                                        ; implicit-def: $vgpr4
                                        ; implicit-def: $vgpr0
.LBB1_54:
	v_mul_hi_u32 v0, s10, v7
	s_andn2_b64 vcc, exec, s[28:29]
	v_add_u32_e32 v0, v7, v0
	v_lshrrev_b32_e32 v1, s11, v0
	v_mul_lo_u32 v0, v1, s9
	v_sub_u32_e32 v0, v7, v0
	v_mul_lo_u32 v2, v0, s24
	v_mul_lo_u32 v4, v0, s25
	;; [unrolled: 1-line block ×3, first 2 shown]
	s_cbranch_vccnz .LBB1_56
; %bb.55:
	v_mul_hi_u32 v3, s13, v1
	v_add_u32_e32 v3, v1, v3
	v_lshrrev_b32_e32 v3, s14, v3
	v_mul_lo_u32 v3, v3, s12
	v_sub_u32_e32 v1, v1, v3
	v_mad_u64_u32 v[2:3], s[0:1], v1, s27, v[2:3]
	v_mad_u64_u32 v[4:5], s[0:1], v1, s6, v[4:5]
	;; [unrolled: 1-line block ×3, first 2 shown]
.LBB1_56:
	s_andn2_b64 vcc, exec, s[4:5]
	s_cbranch_vccnz .LBB1_59
; %bb.57:
	s_waitcnt lgkmcnt(0)
	global_load_ubyte v7, v2, s[20:21]
	v_mov_b32_e32 v3, s21
	v_add_co_u32_e32 v1, vcc, s20, v2
	v_addc_co_u32_e32 v2, vcc, 0, v3, vcc
	v_mov_b32_e32 v5, s23
	v_add_co_u32_e32 v3, vcc, s22, v4
	v_addc_co_u32_e32 v4, vcc, 0, v5, vcc
	v_mov_b32_e32 v6, s3
	v_add_co_u32_e32 v5, vcc, s2, v0
	s_ashr_i32 s1, s18, 31
	s_ashr_i32 s2, s17, 31
	v_addc_co_u32_e32 v6, vcc, 0, v6, vcc
	s_mov_b32 s0, s17
	v_mov_b32_e32 v0, s1
	v_mov_b32_e32 v8, s2
.LBB1_58:                               ; =>This Inner Loop Header: Depth=1
	global_load_ubyte v9, v[3:4], off
	global_load_ubyte v10, v[5:6], off
	v_add_co_u32_e32 v5, vcc, s18, v5
	v_addc_co_u32_e32 v6, vcc, v6, v0, vcc
	s_add_i32 s16, s16, -1
	v_add_co_u32_e32 v3, vcc, s0, v3
	v_addc_co_u32_e32 v4, vcc, v4, v8, vcc
	s_cmp_lg_u32 s16, 0
	s_waitcnt vmcnt(0)
	v_mad_legacy_u16 v7, v10, v9, v7
	global_store_byte v[1:2], v7, off
	s_cbranch_scc1 .LBB1_58
.LBB1_59:
	s_endpgm
	.section	.rodata,"a",@progbits
	.p2align	6, 0x0
	.amdhsa_kernel _ZN2at6native12_GLOBAL__N_116_elemwise_kernelILi256ELi4EZNS1_43_compute_linear_combination_internal_kernelIaEEvRNS_14TensorIteratorEiiiEUliE_EEviT1_
		.amdhsa_group_segment_fixed_size 0
		.amdhsa_private_segment_fixed_size 0
		.amdhsa_kernarg_size 440
		.amdhsa_user_sgpr_count 6
		.amdhsa_user_sgpr_private_segment_buffer 1
		.amdhsa_user_sgpr_dispatch_ptr 0
		.amdhsa_user_sgpr_queue_ptr 0
		.amdhsa_user_sgpr_kernarg_segment_ptr 1
		.amdhsa_user_sgpr_dispatch_id 0
		.amdhsa_user_sgpr_flat_scratch_init 0
		.amdhsa_user_sgpr_private_segment_size 0
		.amdhsa_uses_dynamic_stack 0
		.amdhsa_system_sgpr_private_segment_wavefront_offset 0
		.amdhsa_system_sgpr_workgroup_id_x 1
		.amdhsa_system_sgpr_workgroup_id_y 0
		.amdhsa_system_sgpr_workgroup_id_z 0
		.amdhsa_system_sgpr_workgroup_info 0
		.amdhsa_system_vgpr_workitem_id 0
		.amdhsa_next_free_vgpr 12
		.amdhsa_next_free_sgpr 52
		.amdhsa_reserve_vcc 1
		.amdhsa_reserve_flat_scratch 0
		.amdhsa_float_round_mode_32 0
		.amdhsa_float_round_mode_16_64 0
		.amdhsa_float_denorm_mode_32 3
		.amdhsa_float_denorm_mode_16_64 3
		.amdhsa_dx10_clamp 1
		.amdhsa_ieee_mode 1
		.amdhsa_fp16_overflow 0
		.amdhsa_exception_fp_ieee_invalid_op 0
		.amdhsa_exception_fp_denorm_src 0
		.amdhsa_exception_fp_ieee_div_zero 0
		.amdhsa_exception_fp_ieee_overflow 0
		.amdhsa_exception_fp_ieee_underflow 0
		.amdhsa_exception_fp_ieee_inexact 0
		.amdhsa_exception_int_div_zero 0
	.end_amdhsa_kernel
	.section	.text._ZN2at6native12_GLOBAL__N_116_elemwise_kernelILi256ELi4EZNS1_43_compute_linear_combination_internal_kernelIaEEvRNS_14TensorIteratorEiiiEUliE_EEviT1_,"axG",@progbits,_ZN2at6native12_GLOBAL__N_116_elemwise_kernelILi256ELi4EZNS1_43_compute_linear_combination_internal_kernelIaEEvRNS_14TensorIteratorEiiiEUliE_EEviT1_,comdat
.Lfunc_end1:
	.size	_ZN2at6native12_GLOBAL__N_116_elemwise_kernelILi256ELi4EZNS1_43_compute_linear_combination_internal_kernelIaEEvRNS_14TensorIteratorEiiiEUliE_EEviT1_, .Lfunc_end1-_ZN2at6native12_GLOBAL__N_116_elemwise_kernelILi256ELi4EZNS1_43_compute_linear_combination_internal_kernelIaEEvRNS_14TensorIteratorEiiiEUliE_EEviT1_
                                        ; -- End function
	.set _ZN2at6native12_GLOBAL__N_116_elemwise_kernelILi256ELi4EZNS1_43_compute_linear_combination_internal_kernelIaEEvRNS_14TensorIteratorEiiiEUliE_EEviT1_.num_vgpr, 12
	.set _ZN2at6native12_GLOBAL__N_116_elemwise_kernelILi256ELi4EZNS1_43_compute_linear_combination_internal_kernelIaEEvRNS_14TensorIteratorEiiiEUliE_EEviT1_.num_agpr, 0
	.set _ZN2at6native12_GLOBAL__N_116_elemwise_kernelILi256ELi4EZNS1_43_compute_linear_combination_internal_kernelIaEEvRNS_14TensorIteratorEiiiEUliE_EEviT1_.numbered_sgpr, 52
	.set _ZN2at6native12_GLOBAL__N_116_elemwise_kernelILi256ELi4EZNS1_43_compute_linear_combination_internal_kernelIaEEvRNS_14TensorIteratorEiiiEUliE_EEviT1_.num_named_barrier, 0
	.set _ZN2at6native12_GLOBAL__N_116_elemwise_kernelILi256ELi4EZNS1_43_compute_linear_combination_internal_kernelIaEEvRNS_14TensorIteratorEiiiEUliE_EEviT1_.private_seg_size, 0
	.set _ZN2at6native12_GLOBAL__N_116_elemwise_kernelILi256ELi4EZNS1_43_compute_linear_combination_internal_kernelIaEEvRNS_14TensorIteratorEiiiEUliE_EEviT1_.uses_vcc, 1
	.set _ZN2at6native12_GLOBAL__N_116_elemwise_kernelILi256ELi4EZNS1_43_compute_linear_combination_internal_kernelIaEEvRNS_14TensorIteratorEiiiEUliE_EEviT1_.uses_flat_scratch, 0
	.set _ZN2at6native12_GLOBAL__N_116_elemwise_kernelILi256ELi4EZNS1_43_compute_linear_combination_internal_kernelIaEEvRNS_14TensorIteratorEiiiEUliE_EEviT1_.has_dyn_sized_stack, 0
	.set _ZN2at6native12_GLOBAL__N_116_elemwise_kernelILi256ELi4EZNS1_43_compute_linear_combination_internal_kernelIaEEvRNS_14TensorIteratorEiiiEUliE_EEviT1_.has_recursion, 0
	.set _ZN2at6native12_GLOBAL__N_116_elemwise_kernelILi256ELi4EZNS1_43_compute_linear_combination_internal_kernelIaEEvRNS_14TensorIteratorEiiiEUliE_EEviT1_.has_indirect_call, 0
	.section	.AMDGPU.csdata,"",@progbits
; Kernel info:
; codeLenInByte = 2760
; TotalNumSgprs: 56
; NumVgprs: 12
; ScratchSize: 0
; MemoryBound: 0
; FloatMode: 240
; IeeeMode: 1
; LDSByteSize: 0 bytes/workgroup (compile time only)
; SGPRBlocks: 6
; VGPRBlocks: 2
; NumSGPRsForWavesPerEU: 56
; NumVGPRsForWavesPerEU: 12
; Occupancy: 10
; WaveLimiterHint : 1
; COMPUTE_PGM_RSRC2:SCRATCH_EN: 0
; COMPUTE_PGM_RSRC2:USER_SGPR: 6
; COMPUTE_PGM_RSRC2:TRAP_HANDLER: 0
; COMPUTE_PGM_RSRC2:TGID_X_EN: 1
; COMPUTE_PGM_RSRC2:TGID_Y_EN: 0
; COMPUTE_PGM_RSRC2:TGID_Z_EN: 0
; COMPUTE_PGM_RSRC2:TIDIG_COMP_CNT: 0
	.section	.text._ZN2at6native12_GLOBAL__N_116_elemwise_kernelILi256ELi4EZNS1_43_compute_linear_combination_internal_kernelIiEEvRNS_14TensorIteratorEiiiEUliE_EEviT1_,"axG",@progbits,_ZN2at6native12_GLOBAL__N_116_elemwise_kernelILi256ELi4EZNS1_43_compute_linear_combination_internal_kernelIiEEvRNS_14TensorIteratorEiiiEUliE_EEviT1_,comdat
	.globl	_ZN2at6native12_GLOBAL__N_116_elemwise_kernelILi256ELi4EZNS1_43_compute_linear_combination_internal_kernelIiEEvRNS_14TensorIteratorEiiiEUliE_EEviT1_ ; -- Begin function _ZN2at6native12_GLOBAL__N_116_elemwise_kernelILi256ELi4EZNS1_43_compute_linear_combination_internal_kernelIiEEvRNS_14TensorIteratorEiiiEUliE_EEviT1_
	.p2align	8
	.type	_ZN2at6native12_GLOBAL__N_116_elemwise_kernelILi256ELi4EZNS1_43_compute_linear_combination_internal_kernelIiEEvRNS_14TensorIteratorEiiiEUliE_EEviT1_,@function
_ZN2at6native12_GLOBAL__N_116_elemwise_kernelILi256ELi4EZNS1_43_compute_linear_combination_internal_kernelIiEEvRNS_14TensorIteratorEiiiEUliE_EEviT1_: ; @_ZN2at6native12_GLOBAL__N_116_elemwise_kernelILi256ELi4EZNS1_43_compute_linear_combination_internal_kernelIiEEvRNS_14TensorIteratorEiiiEUliE_EEviT1_
; %bb.0:
	s_load_dword s41, s[4:5], 0x0
	s_load_dwordx8 s[8:15], s[4:5], 0x8
	v_lshl_or_b32 v9, s6, 10, v0
	s_load_dwordx4 s[24:27], s[4:5], 0xcc
	s_load_dwordx2 s[6:7], s[4:5], 0xdc
	s_load_dwordx4 s[16:19], s[4:5], 0x1a8
	s_add_u32 s33, s4, 8
	s_addc_u32 s40, s5, 0
	s_waitcnt lgkmcnt(0)
	v_sub_co_u32_e64 v0, s[0:1], s8, 1
	s_xor_b64 s[30:31], s[0:1], -1
	v_readfirstlane_b32 s0, v0
	s_load_dwordx2 s[2:3], s[4:5], 0x1a0
	s_load_dwordx4 s[20:23], s[4:5], 0x190
	s_min_u32 s15, s0, 15
	s_cmp_gt_u32 s8, 1
	v_cmp_lt_u32_e64 s[0:1], 1, v0
	s_cselect_b64 s[28:29], -1, 0
	s_cmp_gt_i32 s16, 0
	v_cndmask_b32_e64 v0, 0, 1, s[0:1]
	s_mov_b64 s[36:37], -1
	s_cselect_b64 s[4:5], -1, 0
	v_cmp_gt_i32_e32 vcc, s41, v9
	v_cmp_ne_u32_e64 s[0:1], 1, v0
	s_and_saveexec_b64 s[34:35], vcc
	s_cbranch_execnz .LBB2_4
; %bb.1:
	s_or_b64 exec, exec, s[34:35]
	v_cmp_gt_i32_e32 vcc, s41, v9
	s_and_saveexec_b64 s[34:35], vcc
	s_cbranch_execnz .LBB2_18
.LBB2_2:
	s_or_b64 exec, exec, s[34:35]
	v_cmp_gt_i32_e32 vcc, s41, v9
	s_and_saveexec_b64 s[34:35], vcc
	s_cbranch_execnz .LBB2_32
.LBB2_3:
	s_or_b64 exec, exec, s[34:35]
	v_cmp_gt_i32_e32 vcc, s41, v9
	s_and_saveexec_b64 s[34:35], vcc
	s_cbranch_execnz .LBB2_46
	s_branch .LBB2_59
.LBB2_4:
	s_and_b64 vcc, exec, s[0:1]
                                        ; implicit-def: $vgpr2
                                        ; implicit-def: $vgpr4
                                        ; implicit-def: $vgpr0
	s_cbranch_vccnz .LBB2_11
; %bb.5:
	v_mov_b32_e32 v2, 0
	s_andn2_b64 vcc, exec, s[30:31]
	v_mov_b32_e32 v4, 0
	v_mov_b32_e32 v0, 0
	s_cbranch_vccnz .LBB2_10
; %bb.6:
	s_add_i32 s8, s15, 1
	s_and_b32 s8, s8, 30
	s_add_u32 s36, s33, 0xffffffe8
	s_addc_u32 s37, s40, -1
	v_mov_b32_e32 v0, 0
	v_mov_b32_e32 v4, 0
	v_mov_b32_e32 v2, 0
	v_mov_b32_e32 v1, v9
.LBB2_7:                                ; =>This Inner Loop Header: Depth=1
	s_load_dwordx4 s[44:47], s[36:37], 0x1c
	s_load_dwordx2 s[38:39], s[36:37], 0x2c
	s_load_dwordx2 s[42:43], s[36:37], 0xec
	s_load_dwordx4 s[48:51], s[36:37], 0xdc
	s_add_u32 s36, s36, 24
	s_waitcnt lgkmcnt(0)
	v_mul_hi_u32 v3, s45, v1
	s_addc_u32 s37, s37, 0
	s_add_i32 s8, s8, -2
	s_cmp_lg_u32 s8, 0
	v_add_u32_e32 v3, v1, v3
	v_lshrrev_b32_e32 v3, s46, v3
	v_mul_lo_u32 v5, v3, s44
	v_mul_hi_u32 v6, s38, v3
	v_sub_u32_e32 v5, v1, v5
	v_add_u32_e32 v1, v3, v6
	v_lshrrev_b32_e32 v1, s39, v1
	v_mul_lo_u32 v8, v1, s47
	v_mul_lo_u32 v6, v5, s48
	;; [unrolled: 1-line block ×4, first 2 shown]
	v_sub_u32_e32 v3, v3, v8
	v_mul_lo_u32 v8, v3, s51
	v_mul_lo_u32 v10, v3, s42
	;; [unrolled: 1-line block ×3, first 2 shown]
	v_add3_u32 v2, v6, v2, v8
	v_add3_u32 v4, v7, v4, v10
	;; [unrolled: 1-line block ×3, first 2 shown]
	s_cbranch_scc1 .LBB2_7
; %bb.8:
	s_bitcmp1_b32 s15, 0
	s_cselect_b64 s[38:39], -1, 0
	s_and_b64 vcc, exec, s[38:39]
	s_cbranch_vccnz .LBB2_10
; %bb.9:
	s_load_dwordx2 s[38:39], s[36:37], 0x1c
	s_load_dword s8, s[36:37], 0x24
	s_load_dwordx2 s[42:43], s[36:37], 0xdc
	s_waitcnt lgkmcnt(0)
	v_mul_hi_u32 v3, s39, v1
	v_add_u32_e32 v3, v1, v3
	v_lshrrev_b32_e32 v3, s8, v3
	v_mul_lo_u32 v3, v3, s38
	s_load_dword s8, s[36:37], 0xe4
	v_sub_u32_e32 v1, v1, v3
	v_mad_u64_u32 v[2:3], s[36:37], v1, s42, v[2:3]
	v_mad_u64_u32 v[4:5], s[36:37], v1, s43, v[4:5]
	s_waitcnt lgkmcnt(0)
	v_mad_u64_u32 v[0:1], s[36:37], v1, s8, v[0:1]
.LBB2_10:
	s_mov_b64 s[36:37], 0
.LBB2_11:
	s_andn2_b64 vcc, exec, s[36:37]
	s_cbranch_vccnz .LBB2_14
; %bb.12:
	v_mul_hi_u32 v0, s10, v9
	s_andn2_b64 vcc, exec, s[28:29]
	v_add_u32_e32 v0, v9, v0
	v_lshrrev_b32_e32 v1, s11, v0
	v_mul_lo_u32 v0, v1, s9
	v_sub_u32_e32 v0, v9, v0
	v_mul_lo_u32 v2, v0, s24
	v_mul_lo_u32 v4, v0, s25
	;; [unrolled: 1-line block ×3, first 2 shown]
	s_cbranch_vccnz .LBB2_14
; %bb.13:
	v_mul_hi_u32 v3, s13, v1
	v_add_u32_e32 v3, v1, v3
	v_lshrrev_b32_e32 v3, s14, v3
	v_mul_lo_u32 v3, v3, s12
	v_sub_u32_e32 v1, v1, v3
	v_mad_u64_u32 v[2:3], s[36:37], v1, s27, v[2:3]
	v_mad_u64_u32 v[4:5], s[36:37], v1, s6, v[4:5]
	;; [unrolled: 1-line block ×3, first 2 shown]
.LBB2_14:
	s_andn2_b64 vcc, exec, s[4:5]
	s_cbranch_vccnz .LBB2_17
; %bb.15:
	s_waitcnt lgkmcnt(0)
	global_load_dword v1, v2, s[20:21]
	v_mov_b32_e32 v3, s21
	v_add_co_u32_e32 v5, vcc, s20, v2
	v_addc_co_u32_e32 v6, vcc, 0, v3, vcc
	v_mov_b32_e32 v2, s23
	v_add_co_u32_e32 v3, vcc, s22, v4
	v_addc_co_u32_e32 v4, vcc, 0, v2, vcc
	s_ashr_i32 s19, s18, 31
	s_ashr_i32 s39, s17, 31
	s_mov_b32 s38, s17
	v_mov_b32_e32 v2, s3
	v_add_co_u32_e32 v7, vcc, s2, v0
	s_lshl_b64 s[36:37], s[18:19], 2
	s_lshl_b64 s[38:39], s[38:39], 2
	v_addc_co_u32_e32 v8, vcc, 0, v2, vcc
	v_mov_b32_e32 v0, s37
	v_mov_b32_e32 v10, s39
	s_mov_b32 s8, s16
.LBB2_16:                               ; =>This Inner Loop Header: Depth=1
	global_load_dword v2, v[3:4], off
	global_load_dword v11, v[7:8], off
	v_add_co_u32_e32 v7, vcc, s36, v7
	v_addc_co_u32_e32 v8, vcc, v8, v0, vcc
	s_add_i32 s8, s8, -1
	v_add_co_u32_e32 v3, vcc, s38, v3
	v_addc_co_u32_e32 v4, vcc, v4, v10, vcc
	s_cmp_lg_u32 s8, 0
	s_waitcnt vmcnt(0)
	v_mad_u64_u32 v[1:2], s[42:43], v11, v2, v[1:2]
	global_store_dword v[5:6], v1, off
	s_cbranch_scc1 .LBB2_16
.LBB2_17:
	v_add_u32_e32 v9, 0x100, v9
	s_or_b64 exec, exec, s[34:35]
	v_cmp_gt_i32_e32 vcc, s41, v9
	s_and_saveexec_b64 s[34:35], vcc
	s_cbranch_execz .LBB2_2
.LBB2_18:
	s_and_b64 vcc, exec, s[0:1]
	s_cbranch_vccnz .LBB2_25
; %bb.19:
	v_mov_b32_e32 v2, 0
	s_andn2_b64 vcc, exec, s[30:31]
	v_mov_b32_e32 v4, 0
	v_mov_b32_e32 v0, 0
	s_cbranch_vccnz .LBB2_24
; %bb.20:
	s_add_i32 s8, s15, 1
	s_and_b32 s8, s8, 30
	s_add_u32 s36, s33, 0xffffffe8
	s_addc_u32 s37, s40, -1
	v_mov_b32_e32 v0, 0
	v_mov_b32_e32 v4, 0
	;; [unrolled: 1-line block ×4, first 2 shown]
.LBB2_21:                               ; =>This Inner Loop Header: Depth=1
	s_load_dwordx4 s[44:47], s[36:37], 0x1c
	s_load_dwordx2 s[38:39], s[36:37], 0x2c
	s_load_dwordx2 s[42:43], s[36:37], 0xec
	s_load_dwordx4 s[48:51], s[36:37], 0xdc
	s_add_u32 s36, s36, 24
	s_waitcnt lgkmcnt(0)
	v_mul_hi_u32 v3, s45, v1
	s_addc_u32 s37, s37, 0
	s_add_i32 s8, s8, -2
	s_cmp_eq_u32 s8, 0
	v_add_u32_e32 v3, v1, v3
	v_lshrrev_b32_e32 v3, s46, v3
	v_mul_lo_u32 v5, v3, s44
	v_mul_hi_u32 v6, s38, v3
	v_sub_u32_e32 v5, v1, v5
	v_add_u32_e32 v1, v3, v6
	v_lshrrev_b32_e32 v1, s39, v1
	v_mul_lo_u32 v8, v1, s47
	v_mul_lo_u32 v6, v5, s48
	;; [unrolled: 1-line block ×4, first 2 shown]
	v_sub_u32_e32 v3, v3, v8
	v_mul_lo_u32 v8, v3, s51
	v_mul_lo_u32 v10, v3, s42
	;; [unrolled: 1-line block ×3, first 2 shown]
	v_add3_u32 v2, v6, v2, v8
	v_add3_u32 v4, v7, v4, v10
	;; [unrolled: 1-line block ×3, first 2 shown]
	s_cbranch_scc0 .LBB2_21
; %bb.22:
	s_bitcmp1_b32 s15, 0
	s_cselect_b64 s[38:39], -1, 0
	s_and_b64 vcc, exec, s[38:39]
	s_cbranch_vccnz .LBB2_24
; %bb.23:
	s_load_dwordx2 s[38:39], s[36:37], 0x1c
	s_load_dword s8, s[36:37], 0x24
	s_load_dwordx2 s[42:43], s[36:37], 0xdc
	s_waitcnt lgkmcnt(0)
	v_mul_hi_u32 v3, s39, v1
	v_add_u32_e32 v3, v1, v3
	v_lshrrev_b32_e32 v3, s8, v3
	v_mul_lo_u32 v3, v3, s38
	s_load_dword s8, s[36:37], 0xe4
	v_sub_u32_e32 v1, v1, v3
	v_mad_u64_u32 v[2:3], s[36:37], v1, s42, v[2:3]
	v_mad_u64_u32 v[4:5], s[36:37], v1, s43, v[4:5]
	s_waitcnt lgkmcnt(0)
	v_mad_u64_u32 v[0:1], s[36:37], v1, s8, v[0:1]
.LBB2_24:
	s_cbranch_execz .LBB2_26
	s_branch .LBB2_28
.LBB2_25:
                                        ; implicit-def: $vgpr2
                                        ; implicit-def: $vgpr4
                                        ; implicit-def: $vgpr0
.LBB2_26:
	v_mul_hi_u32 v0, s10, v9
	s_andn2_b64 vcc, exec, s[28:29]
	v_add_u32_e32 v0, v9, v0
	v_lshrrev_b32_e32 v1, s11, v0
	v_mul_lo_u32 v0, v1, s9
	v_sub_u32_e32 v0, v9, v0
	v_mul_lo_u32 v2, v0, s24
	v_mul_lo_u32 v4, v0, s25
	;; [unrolled: 1-line block ×3, first 2 shown]
	s_cbranch_vccnz .LBB2_28
; %bb.27:
	v_mul_hi_u32 v3, s13, v1
	v_add_u32_e32 v3, v1, v3
	v_lshrrev_b32_e32 v3, s14, v3
	v_mul_lo_u32 v3, v3, s12
	v_sub_u32_e32 v1, v1, v3
	v_mad_u64_u32 v[2:3], s[36:37], v1, s27, v[2:3]
	v_mad_u64_u32 v[4:5], s[36:37], v1, s6, v[4:5]
	;; [unrolled: 1-line block ×3, first 2 shown]
.LBB2_28:
	s_andn2_b64 vcc, exec, s[4:5]
	s_cbranch_vccnz .LBB2_31
; %bb.29:
	s_waitcnt lgkmcnt(0)
	global_load_dword v1, v2, s[20:21]
	v_mov_b32_e32 v3, s21
	v_add_co_u32_e32 v5, vcc, s20, v2
	v_addc_co_u32_e32 v6, vcc, 0, v3, vcc
	v_mov_b32_e32 v2, s23
	v_add_co_u32_e32 v3, vcc, s22, v4
	v_addc_co_u32_e32 v4, vcc, 0, v2, vcc
	s_ashr_i32 s19, s18, 31
	s_ashr_i32 s39, s17, 31
	s_mov_b32 s38, s17
	v_mov_b32_e32 v2, s3
	v_add_co_u32_e32 v7, vcc, s2, v0
	s_lshl_b64 s[36:37], s[18:19], 2
	s_lshl_b64 s[38:39], s[38:39], 2
	v_addc_co_u32_e32 v8, vcc, 0, v2, vcc
	v_mov_b32_e32 v0, s37
	v_mov_b32_e32 v10, s39
	s_mov_b32 s8, s16
.LBB2_30:                               ; =>This Inner Loop Header: Depth=1
	global_load_dword v2, v[3:4], off
	global_load_dword v11, v[7:8], off
	v_add_co_u32_e32 v7, vcc, s36, v7
	v_addc_co_u32_e32 v8, vcc, v8, v0, vcc
	s_add_i32 s8, s8, -1
	v_add_co_u32_e32 v3, vcc, s38, v3
	v_addc_co_u32_e32 v4, vcc, v4, v10, vcc
	s_cmp_lg_u32 s8, 0
	s_waitcnt vmcnt(0)
	v_mad_u64_u32 v[1:2], s[42:43], v11, v2, v[1:2]
	global_store_dword v[5:6], v1, off
	s_cbranch_scc1 .LBB2_30
.LBB2_31:
	v_add_u32_e32 v9, 0x100, v9
	s_or_b64 exec, exec, s[34:35]
	v_cmp_gt_i32_e32 vcc, s41, v9
	s_and_saveexec_b64 s[34:35], vcc
	s_cbranch_execz .LBB2_3
.LBB2_32:
	s_and_b64 vcc, exec, s[0:1]
	s_cbranch_vccnz .LBB2_39
; %bb.33:
	v_mov_b32_e32 v2, 0
	s_andn2_b64 vcc, exec, s[30:31]
	v_mov_b32_e32 v4, 0
	v_mov_b32_e32 v0, 0
	s_cbranch_vccnz .LBB2_38
; %bb.34:
	s_add_i32 s8, s15, 1
	s_and_b32 s8, s8, 30
	s_add_u32 s36, s33, 0xffffffe8
	s_addc_u32 s37, s40, -1
	v_mov_b32_e32 v0, 0
	v_mov_b32_e32 v4, 0
	;; [unrolled: 1-line block ×4, first 2 shown]
.LBB2_35:                               ; =>This Inner Loop Header: Depth=1
	s_load_dwordx4 s[44:47], s[36:37], 0x1c
	s_load_dwordx2 s[38:39], s[36:37], 0x2c
	s_load_dwordx2 s[42:43], s[36:37], 0xec
	s_load_dwordx4 s[48:51], s[36:37], 0xdc
	s_add_u32 s36, s36, 24
	s_waitcnt lgkmcnt(0)
	v_mul_hi_u32 v3, s45, v1
	s_addc_u32 s37, s37, 0
	s_add_i32 s8, s8, -2
	s_cmp_eq_u32 s8, 0
	v_add_u32_e32 v3, v1, v3
	v_lshrrev_b32_e32 v3, s46, v3
	v_mul_lo_u32 v5, v3, s44
	v_mul_hi_u32 v6, s38, v3
	v_sub_u32_e32 v5, v1, v5
	v_add_u32_e32 v1, v3, v6
	v_lshrrev_b32_e32 v1, s39, v1
	v_mul_lo_u32 v8, v1, s47
	v_mul_lo_u32 v6, v5, s48
	;; [unrolled: 1-line block ×4, first 2 shown]
	v_sub_u32_e32 v3, v3, v8
	v_mul_lo_u32 v8, v3, s51
	v_mul_lo_u32 v10, v3, s42
	;; [unrolled: 1-line block ×3, first 2 shown]
	v_add3_u32 v2, v6, v2, v8
	v_add3_u32 v4, v7, v4, v10
	;; [unrolled: 1-line block ×3, first 2 shown]
	s_cbranch_scc0 .LBB2_35
; %bb.36:
	s_bitcmp1_b32 s15, 0
	s_cselect_b64 s[38:39], -1, 0
	s_and_b64 vcc, exec, s[38:39]
	s_cbranch_vccnz .LBB2_38
; %bb.37:
	s_load_dwordx2 s[38:39], s[36:37], 0x1c
	s_load_dword s8, s[36:37], 0x24
	s_load_dwordx2 s[42:43], s[36:37], 0xdc
	s_waitcnt lgkmcnt(0)
	v_mul_hi_u32 v3, s39, v1
	v_add_u32_e32 v3, v1, v3
	v_lshrrev_b32_e32 v3, s8, v3
	v_mul_lo_u32 v3, v3, s38
	s_load_dword s8, s[36:37], 0xe4
	v_sub_u32_e32 v1, v1, v3
	v_mad_u64_u32 v[2:3], s[36:37], v1, s42, v[2:3]
	v_mad_u64_u32 v[4:5], s[36:37], v1, s43, v[4:5]
	s_waitcnt lgkmcnt(0)
	v_mad_u64_u32 v[0:1], s[36:37], v1, s8, v[0:1]
.LBB2_38:
	s_cbranch_execz .LBB2_40
	s_branch .LBB2_42
.LBB2_39:
                                        ; implicit-def: $vgpr2
                                        ; implicit-def: $vgpr4
                                        ; implicit-def: $vgpr0
.LBB2_40:
	v_mul_hi_u32 v0, s10, v9
	s_andn2_b64 vcc, exec, s[28:29]
	v_add_u32_e32 v0, v9, v0
	v_lshrrev_b32_e32 v1, s11, v0
	v_mul_lo_u32 v0, v1, s9
	v_sub_u32_e32 v0, v9, v0
	v_mul_lo_u32 v2, v0, s24
	v_mul_lo_u32 v4, v0, s25
	;; [unrolled: 1-line block ×3, first 2 shown]
	s_cbranch_vccnz .LBB2_42
; %bb.41:
	v_mul_hi_u32 v3, s13, v1
	v_add_u32_e32 v3, v1, v3
	v_lshrrev_b32_e32 v3, s14, v3
	v_mul_lo_u32 v3, v3, s12
	v_sub_u32_e32 v1, v1, v3
	v_mad_u64_u32 v[2:3], s[36:37], v1, s27, v[2:3]
	v_mad_u64_u32 v[4:5], s[36:37], v1, s6, v[4:5]
	;; [unrolled: 1-line block ×3, first 2 shown]
.LBB2_42:
	s_andn2_b64 vcc, exec, s[4:5]
	s_cbranch_vccnz .LBB2_45
; %bb.43:
	s_waitcnt lgkmcnt(0)
	global_load_dword v1, v2, s[20:21]
	v_mov_b32_e32 v3, s21
	v_add_co_u32_e32 v5, vcc, s20, v2
	v_addc_co_u32_e32 v6, vcc, 0, v3, vcc
	v_mov_b32_e32 v2, s23
	v_add_co_u32_e32 v3, vcc, s22, v4
	v_addc_co_u32_e32 v4, vcc, 0, v2, vcc
	s_ashr_i32 s19, s18, 31
	s_ashr_i32 s39, s17, 31
	s_mov_b32 s38, s17
	v_mov_b32_e32 v2, s3
	v_add_co_u32_e32 v7, vcc, s2, v0
	s_lshl_b64 s[36:37], s[18:19], 2
	s_lshl_b64 s[38:39], s[38:39], 2
	v_addc_co_u32_e32 v8, vcc, 0, v2, vcc
	v_mov_b32_e32 v0, s37
	v_mov_b32_e32 v10, s39
	s_mov_b32 s8, s16
.LBB2_44:                               ; =>This Inner Loop Header: Depth=1
	global_load_dword v2, v[3:4], off
	global_load_dword v11, v[7:8], off
	v_add_co_u32_e32 v7, vcc, s36, v7
	v_addc_co_u32_e32 v8, vcc, v8, v0, vcc
	s_add_i32 s8, s8, -1
	v_add_co_u32_e32 v3, vcc, s38, v3
	v_addc_co_u32_e32 v4, vcc, v4, v10, vcc
	s_cmp_lg_u32 s8, 0
	s_waitcnt vmcnt(0)
	v_mad_u64_u32 v[1:2], s[42:43], v11, v2, v[1:2]
	global_store_dword v[5:6], v1, off
	s_cbranch_scc1 .LBB2_44
.LBB2_45:
	v_add_u32_e32 v9, 0x100, v9
	s_or_b64 exec, exec, s[34:35]
	v_cmp_gt_i32_e32 vcc, s41, v9
	s_and_saveexec_b64 s[34:35], vcc
	s_cbranch_execz .LBB2_59
.LBB2_46:
	s_and_b64 vcc, exec, s[0:1]
	s_cbranch_vccnz .LBB2_53
; %bb.47:
	v_mov_b32_e32 v2, 0
	s_andn2_b64 vcc, exec, s[30:31]
	v_mov_b32_e32 v4, 0
	v_mov_b32_e32 v0, 0
	s_cbranch_vccnz .LBB2_52
; %bb.48:
	s_add_i32 s0, s15, 1
	s_and_b32 s8, s0, 30
	s_add_u32 s0, s33, 0xffffffe8
	s_addc_u32 s1, s40, -1
	v_mov_b32_e32 v0, 0
	v_mov_b32_e32 v4, 0
	;; [unrolled: 1-line block ×4, first 2 shown]
.LBB2_49:                               ; =>This Inner Loop Header: Depth=1
	s_load_dwordx4 s[36:39], s[0:1], 0x1c
	s_load_dwordx2 s[30:31], s[0:1], 0x2c
	s_load_dwordx2 s[34:35], s[0:1], 0xec
	s_load_dwordx4 s[40:43], s[0:1], 0xdc
	s_add_u32 s0, s0, 24
	s_waitcnt lgkmcnt(0)
	v_mul_hi_u32 v3, s37, v1
	s_addc_u32 s1, s1, 0
	s_add_i32 s8, s8, -2
	s_cmp_eq_u32 s8, 0
	v_add_u32_e32 v3, v1, v3
	v_lshrrev_b32_e32 v3, s38, v3
	v_mul_lo_u32 v5, v3, s36
	v_mul_hi_u32 v6, s30, v3
	v_sub_u32_e32 v5, v1, v5
	v_add_u32_e32 v1, v3, v6
	v_lshrrev_b32_e32 v1, s31, v1
	v_mul_lo_u32 v8, v1, s39
	v_mul_lo_u32 v6, v5, s40
	;; [unrolled: 1-line block ×4, first 2 shown]
	v_sub_u32_e32 v3, v3, v8
	v_mul_lo_u32 v8, v3, s43
	v_mul_lo_u32 v10, v3, s34
	;; [unrolled: 1-line block ×3, first 2 shown]
	v_add3_u32 v2, v6, v2, v8
	v_add3_u32 v4, v7, v4, v10
	;; [unrolled: 1-line block ×3, first 2 shown]
	s_cbranch_scc0 .LBB2_49
; %bb.50:
	s_bitcmp1_b32 s15, 0
	s_cselect_b64 s[30:31], -1, 0
	s_and_b64 vcc, exec, s[30:31]
	s_cbranch_vccnz .LBB2_52
; %bb.51:
	s_load_dwordx2 s[30:31], s[0:1], 0x1c
	s_load_dword s8, s[0:1], 0x24
	s_load_dwordx2 s[34:35], s[0:1], 0xdc
	s_waitcnt lgkmcnt(0)
	v_mul_hi_u32 v3, s31, v1
	v_add_u32_e32 v3, v1, v3
	v_lshrrev_b32_e32 v3, s8, v3
	v_mul_lo_u32 v3, v3, s30
	s_load_dword s8, s[0:1], 0xe4
	v_sub_u32_e32 v1, v1, v3
	v_mad_u64_u32 v[2:3], s[0:1], v1, s34, v[2:3]
	v_mad_u64_u32 v[4:5], s[0:1], v1, s35, v[4:5]
	s_waitcnt lgkmcnt(0)
	v_mad_u64_u32 v[0:1], s[0:1], v1, s8, v[0:1]
.LBB2_52:
	s_cbranch_execz .LBB2_54
	s_branch .LBB2_56
.LBB2_53:
                                        ; implicit-def: $vgpr2
                                        ; implicit-def: $vgpr4
                                        ; implicit-def: $vgpr0
.LBB2_54:
	v_mul_hi_u32 v0, s10, v9
	s_andn2_b64 vcc, exec, s[28:29]
	v_add_u32_e32 v0, v9, v0
	v_lshrrev_b32_e32 v1, s11, v0
	v_mul_lo_u32 v0, v1, s9
	v_sub_u32_e32 v0, v9, v0
	v_mul_lo_u32 v2, v0, s24
	v_mul_lo_u32 v4, v0, s25
	;; [unrolled: 1-line block ×3, first 2 shown]
	s_cbranch_vccnz .LBB2_56
; %bb.55:
	v_mul_hi_u32 v3, s13, v1
	v_add_u32_e32 v3, v1, v3
	v_lshrrev_b32_e32 v3, s14, v3
	v_mul_lo_u32 v3, v3, s12
	v_sub_u32_e32 v1, v1, v3
	v_mad_u64_u32 v[2:3], s[0:1], v1, s27, v[2:3]
	v_mad_u64_u32 v[4:5], s[0:1], v1, s6, v[4:5]
	;; [unrolled: 1-line block ×3, first 2 shown]
.LBB2_56:
	s_andn2_b64 vcc, exec, s[4:5]
	s_cbranch_vccnz .LBB2_59
; %bb.57:
	s_waitcnt lgkmcnt(0)
	global_load_dword v1, v2, s[20:21]
	v_mov_b32_e32 v3, s21
	v_add_co_u32_e32 v5, vcc, s20, v2
	v_addc_co_u32_e32 v6, vcc, 0, v3, vcc
	v_mov_b32_e32 v2, s23
	v_add_co_u32_e32 v3, vcc, s22, v4
	v_addc_co_u32_e32 v4, vcc, 0, v2, vcc
	v_mov_b32_e32 v2, s3
	v_add_co_u32_e32 v7, vcc, s2, v0
	s_ashr_i32 s19, s18, 31
	s_ashr_i32 s3, s17, 31
	s_mov_b32 s2, s17
	s_lshl_b64 s[0:1], s[18:19], 2
	s_lshl_b64 s[2:3], s[2:3], 2
	v_addc_co_u32_e32 v8, vcc, 0, v2, vcc
	v_mov_b32_e32 v0, s1
	v_mov_b32_e32 v9, s3
.LBB2_58:                               ; =>This Inner Loop Header: Depth=1
	global_load_dword v2, v[3:4], off
	global_load_dword v10, v[7:8], off
	v_add_co_u32_e32 v7, vcc, s0, v7
	v_addc_co_u32_e32 v8, vcc, v8, v0, vcc
	s_add_i32 s16, s16, -1
	v_add_co_u32_e32 v3, vcc, s2, v3
	v_addc_co_u32_e32 v4, vcc, v4, v9, vcc
	s_cmp_lg_u32 s16, 0
	s_waitcnt vmcnt(0)
	v_mad_u64_u32 v[1:2], s[4:5], v10, v2, v[1:2]
	global_store_dword v[5:6], v1, off
	s_cbranch_scc1 .LBB2_58
.LBB2_59:
	s_endpgm
	.section	.rodata,"a",@progbits
	.p2align	6, 0x0
	.amdhsa_kernel _ZN2at6native12_GLOBAL__N_116_elemwise_kernelILi256ELi4EZNS1_43_compute_linear_combination_internal_kernelIiEEvRNS_14TensorIteratorEiiiEUliE_EEviT1_
		.amdhsa_group_segment_fixed_size 0
		.amdhsa_private_segment_fixed_size 0
		.amdhsa_kernarg_size 440
		.amdhsa_user_sgpr_count 6
		.amdhsa_user_sgpr_private_segment_buffer 1
		.amdhsa_user_sgpr_dispatch_ptr 0
		.amdhsa_user_sgpr_queue_ptr 0
		.amdhsa_user_sgpr_kernarg_segment_ptr 1
		.amdhsa_user_sgpr_dispatch_id 0
		.amdhsa_user_sgpr_flat_scratch_init 0
		.amdhsa_user_sgpr_private_segment_size 0
		.amdhsa_uses_dynamic_stack 0
		.amdhsa_system_sgpr_private_segment_wavefront_offset 0
		.amdhsa_system_sgpr_workgroup_id_x 1
		.amdhsa_system_sgpr_workgroup_id_y 0
		.amdhsa_system_sgpr_workgroup_id_z 0
		.amdhsa_system_sgpr_workgroup_info 0
		.amdhsa_system_vgpr_workitem_id 0
		.amdhsa_next_free_vgpr 12
		.amdhsa_next_free_sgpr 52
		.amdhsa_reserve_vcc 1
		.amdhsa_reserve_flat_scratch 0
		.amdhsa_float_round_mode_32 0
		.amdhsa_float_round_mode_16_64 0
		.amdhsa_float_denorm_mode_32 3
		.amdhsa_float_denorm_mode_16_64 3
		.amdhsa_dx10_clamp 1
		.amdhsa_ieee_mode 1
		.amdhsa_fp16_overflow 0
		.amdhsa_exception_fp_ieee_invalid_op 0
		.amdhsa_exception_fp_denorm_src 0
		.amdhsa_exception_fp_ieee_div_zero 0
		.amdhsa_exception_fp_ieee_overflow 0
		.amdhsa_exception_fp_ieee_underflow 0
		.amdhsa_exception_fp_ieee_inexact 0
		.amdhsa_exception_int_div_zero 0
	.end_amdhsa_kernel
	.section	.text._ZN2at6native12_GLOBAL__N_116_elemwise_kernelILi256ELi4EZNS1_43_compute_linear_combination_internal_kernelIiEEvRNS_14TensorIteratorEiiiEUliE_EEviT1_,"axG",@progbits,_ZN2at6native12_GLOBAL__N_116_elemwise_kernelILi256ELi4EZNS1_43_compute_linear_combination_internal_kernelIiEEvRNS_14TensorIteratorEiiiEUliE_EEviT1_,comdat
.Lfunc_end2:
	.size	_ZN2at6native12_GLOBAL__N_116_elemwise_kernelILi256ELi4EZNS1_43_compute_linear_combination_internal_kernelIiEEvRNS_14TensorIteratorEiiiEUliE_EEviT1_, .Lfunc_end2-_ZN2at6native12_GLOBAL__N_116_elemwise_kernelILi256ELi4EZNS1_43_compute_linear_combination_internal_kernelIiEEvRNS_14TensorIteratorEiiiEUliE_EEviT1_
                                        ; -- End function
	.set _ZN2at6native12_GLOBAL__N_116_elemwise_kernelILi256ELi4EZNS1_43_compute_linear_combination_internal_kernelIiEEvRNS_14TensorIteratorEiiiEUliE_EEviT1_.num_vgpr, 12
	.set _ZN2at6native12_GLOBAL__N_116_elemwise_kernelILi256ELi4EZNS1_43_compute_linear_combination_internal_kernelIiEEvRNS_14TensorIteratorEiiiEUliE_EEviT1_.num_agpr, 0
	.set _ZN2at6native12_GLOBAL__N_116_elemwise_kernelILi256ELi4EZNS1_43_compute_linear_combination_internal_kernelIiEEvRNS_14TensorIteratorEiiiEUliE_EEviT1_.numbered_sgpr, 52
	.set _ZN2at6native12_GLOBAL__N_116_elemwise_kernelILi256ELi4EZNS1_43_compute_linear_combination_internal_kernelIiEEvRNS_14TensorIteratorEiiiEUliE_EEviT1_.num_named_barrier, 0
	.set _ZN2at6native12_GLOBAL__N_116_elemwise_kernelILi256ELi4EZNS1_43_compute_linear_combination_internal_kernelIiEEvRNS_14TensorIteratorEiiiEUliE_EEviT1_.private_seg_size, 0
	.set _ZN2at6native12_GLOBAL__N_116_elemwise_kernelILi256ELi4EZNS1_43_compute_linear_combination_internal_kernelIiEEvRNS_14TensorIteratorEiiiEUliE_EEviT1_.uses_vcc, 1
	.set _ZN2at6native12_GLOBAL__N_116_elemwise_kernelILi256ELi4EZNS1_43_compute_linear_combination_internal_kernelIiEEvRNS_14TensorIteratorEiiiEUliE_EEviT1_.uses_flat_scratch, 0
	.set _ZN2at6native12_GLOBAL__N_116_elemwise_kernelILi256ELi4EZNS1_43_compute_linear_combination_internal_kernelIiEEvRNS_14TensorIteratorEiiiEUliE_EEviT1_.has_dyn_sized_stack, 0
	.set _ZN2at6native12_GLOBAL__N_116_elemwise_kernelILi256ELi4EZNS1_43_compute_linear_combination_internal_kernelIiEEvRNS_14TensorIteratorEiiiEUliE_EEviT1_.has_recursion, 0
	.set _ZN2at6native12_GLOBAL__N_116_elemwise_kernelILi256ELi4EZNS1_43_compute_linear_combination_internal_kernelIiEEvRNS_14TensorIteratorEiiiEUliE_EEviT1_.has_indirect_call, 0
	.section	.AMDGPU.csdata,"",@progbits
; Kernel info:
; codeLenInByte = 2792
; TotalNumSgprs: 56
; NumVgprs: 12
; ScratchSize: 0
; MemoryBound: 0
; FloatMode: 240
; IeeeMode: 1
; LDSByteSize: 0 bytes/workgroup (compile time only)
; SGPRBlocks: 6
; VGPRBlocks: 2
; NumSGPRsForWavesPerEU: 56
; NumVGPRsForWavesPerEU: 12
; Occupancy: 10
; WaveLimiterHint : 1
; COMPUTE_PGM_RSRC2:SCRATCH_EN: 0
; COMPUTE_PGM_RSRC2:USER_SGPR: 6
; COMPUTE_PGM_RSRC2:TRAP_HANDLER: 0
; COMPUTE_PGM_RSRC2:TGID_X_EN: 1
; COMPUTE_PGM_RSRC2:TGID_Y_EN: 0
; COMPUTE_PGM_RSRC2:TGID_Z_EN: 0
; COMPUTE_PGM_RSRC2:TIDIG_COMP_CNT: 0
	.section	.text._ZN2at6native12_GLOBAL__N_116_elemwise_kernelILi256ELi4EZNS1_43_compute_linear_combination_internal_kernelIlEEvRNS_14TensorIteratorEiiiEUliE_EEviT1_,"axG",@progbits,_ZN2at6native12_GLOBAL__N_116_elemwise_kernelILi256ELi4EZNS1_43_compute_linear_combination_internal_kernelIlEEvRNS_14TensorIteratorEiiiEUliE_EEviT1_,comdat
	.globl	_ZN2at6native12_GLOBAL__N_116_elemwise_kernelILi256ELi4EZNS1_43_compute_linear_combination_internal_kernelIlEEvRNS_14TensorIteratorEiiiEUliE_EEviT1_ ; -- Begin function _ZN2at6native12_GLOBAL__N_116_elemwise_kernelILi256ELi4EZNS1_43_compute_linear_combination_internal_kernelIlEEvRNS_14TensorIteratorEiiiEUliE_EEviT1_
	.p2align	8
	.type	_ZN2at6native12_GLOBAL__N_116_elemwise_kernelILi256ELi4EZNS1_43_compute_linear_combination_internal_kernelIlEEvRNS_14TensorIteratorEiiiEUliE_EEviT1_,@function
_ZN2at6native12_GLOBAL__N_116_elemwise_kernelILi256ELi4EZNS1_43_compute_linear_combination_internal_kernelIlEEvRNS_14TensorIteratorEiiiEUliE_EEviT1_: ; @_ZN2at6native12_GLOBAL__N_116_elemwise_kernelILi256ELi4EZNS1_43_compute_linear_combination_internal_kernelIlEEvRNS_14TensorIteratorEiiiEUliE_EEviT1_
; %bb.0:
	s_load_dword s41, s[4:5], 0x0
	s_load_dwordx8 s[8:15], s[4:5], 0x8
	v_lshl_or_b32 v9, s6, 10, v0
	s_load_dwordx4 s[24:27], s[4:5], 0xcc
	s_load_dwordx2 s[6:7], s[4:5], 0xdc
	s_load_dwordx4 s[16:19], s[4:5], 0x1a8
	s_add_u32 s33, s4, 8
	s_addc_u32 s40, s5, 0
	s_waitcnt lgkmcnt(0)
	v_sub_co_u32_e64 v0, s[0:1], s8, 1
	s_xor_b64 s[30:31], s[0:1], -1
	v_readfirstlane_b32 s0, v0
	s_load_dwordx2 s[2:3], s[4:5], 0x1a0
	s_load_dwordx4 s[20:23], s[4:5], 0x190
	s_min_u32 s15, s0, 15
	s_cmp_gt_u32 s8, 1
	v_cmp_lt_u32_e64 s[0:1], 1, v0
	s_cselect_b64 s[28:29], -1, 0
	s_cmp_gt_i32 s16, 0
	v_cndmask_b32_e64 v0, 0, 1, s[0:1]
	s_mov_b64 s[36:37], -1
	s_cselect_b64 s[4:5], -1, 0
	v_cmp_gt_i32_e32 vcc, s41, v9
	v_cmp_ne_u32_e64 s[0:1], 1, v0
	s_and_saveexec_b64 s[34:35], vcc
	s_cbranch_execnz .LBB3_4
; %bb.1:
	s_or_b64 exec, exec, s[34:35]
	v_cmp_gt_i32_e32 vcc, s41, v9
	s_and_saveexec_b64 s[34:35], vcc
	s_cbranch_execnz .LBB3_18
.LBB3_2:
	s_or_b64 exec, exec, s[34:35]
	v_cmp_gt_i32_e32 vcc, s41, v9
	s_and_saveexec_b64 s[34:35], vcc
	s_cbranch_execnz .LBB3_32
.LBB3_3:
	s_or_b64 exec, exec, s[34:35]
	v_cmp_gt_i32_e32 vcc, s41, v9
	s_and_saveexec_b64 s[34:35], vcc
	s_cbranch_execnz .LBB3_46
	s_branch .LBB3_59
.LBB3_4:
	s_and_b64 vcc, exec, s[0:1]
                                        ; implicit-def: $vgpr2
                                        ; implicit-def: $vgpr4
                                        ; implicit-def: $vgpr0
	s_cbranch_vccnz .LBB3_11
; %bb.5:
	v_mov_b32_e32 v2, 0
	s_andn2_b64 vcc, exec, s[30:31]
	v_mov_b32_e32 v4, 0
	v_mov_b32_e32 v0, 0
	s_cbranch_vccnz .LBB3_10
; %bb.6:
	s_add_i32 s8, s15, 1
	s_and_b32 s8, s8, 30
	s_add_u32 s36, s33, 0xffffffe8
	s_addc_u32 s37, s40, -1
	v_mov_b32_e32 v0, 0
	v_mov_b32_e32 v4, 0
	;; [unrolled: 1-line block ×4, first 2 shown]
.LBB3_7:                                ; =>This Inner Loop Header: Depth=1
	s_load_dwordx4 s[44:47], s[36:37], 0x1c
	s_load_dwordx2 s[38:39], s[36:37], 0x2c
	s_load_dwordx2 s[42:43], s[36:37], 0xec
	s_load_dwordx4 s[48:51], s[36:37], 0xdc
	s_add_u32 s36, s36, 24
	s_waitcnt lgkmcnt(0)
	v_mul_hi_u32 v3, s45, v1
	s_addc_u32 s37, s37, 0
	s_add_i32 s8, s8, -2
	s_cmp_lg_u32 s8, 0
	v_add_u32_e32 v3, v1, v3
	v_lshrrev_b32_e32 v3, s46, v3
	v_mul_lo_u32 v5, v3, s44
	v_mul_hi_u32 v6, s38, v3
	v_sub_u32_e32 v5, v1, v5
	v_add_u32_e32 v1, v3, v6
	v_lshrrev_b32_e32 v1, s39, v1
	v_mul_lo_u32 v8, v1, s47
	v_mul_lo_u32 v6, v5, s48
	;; [unrolled: 1-line block ×4, first 2 shown]
	v_sub_u32_e32 v3, v3, v8
	v_mul_lo_u32 v8, v3, s51
	v_mul_lo_u32 v10, v3, s42
	;; [unrolled: 1-line block ×3, first 2 shown]
	v_add3_u32 v2, v6, v2, v8
	v_add3_u32 v4, v7, v4, v10
	;; [unrolled: 1-line block ×3, first 2 shown]
	s_cbranch_scc1 .LBB3_7
; %bb.8:
	s_bitcmp1_b32 s15, 0
	s_cselect_b64 s[38:39], -1, 0
	s_and_b64 vcc, exec, s[38:39]
	s_cbranch_vccnz .LBB3_10
; %bb.9:
	s_load_dwordx2 s[38:39], s[36:37], 0x1c
	s_load_dword s8, s[36:37], 0x24
	s_load_dwordx2 s[42:43], s[36:37], 0xdc
	s_waitcnt lgkmcnt(0)
	v_mul_hi_u32 v3, s39, v1
	v_add_u32_e32 v3, v1, v3
	v_lshrrev_b32_e32 v3, s8, v3
	v_mul_lo_u32 v3, v3, s38
	s_load_dword s8, s[36:37], 0xe4
	v_sub_u32_e32 v1, v1, v3
	v_mad_u64_u32 v[2:3], s[36:37], v1, s42, v[2:3]
	v_mad_u64_u32 v[4:5], s[36:37], v1, s43, v[4:5]
	s_waitcnt lgkmcnt(0)
	v_mad_u64_u32 v[0:1], s[36:37], v1, s8, v[0:1]
.LBB3_10:
	s_mov_b64 s[36:37], 0
.LBB3_11:
	s_andn2_b64 vcc, exec, s[36:37]
	s_cbranch_vccnz .LBB3_14
; %bb.12:
	v_mul_hi_u32 v0, s10, v9
	s_andn2_b64 vcc, exec, s[28:29]
	v_add_u32_e32 v0, v9, v0
	v_lshrrev_b32_e32 v1, s11, v0
	v_mul_lo_u32 v0, v1, s9
	v_sub_u32_e32 v0, v9, v0
	v_mul_lo_u32 v2, v0, s24
	v_mul_lo_u32 v4, v0, s25
	;; [unrolled: 1-line block ×3, first 2 shown]
	s_cbranch_vccnz .LBB3_14
; %bb.13:
	v_mul_hi_u32 v3, s13, v1
	v_add_u32_e32 v3, v1, v3
	v_lshrrev_b32_e32 v3, s14, v3
	v_mul_lo_u32 v3, v3, s12
	v_sub_u32_e32 v1, v1, v3
	v_mad_u64_u32 v[2:3], s[36:37], v1, s27, v[2:3]
	v_mad_u64_u32 v[4:5], s[36:37], v1, s6, v[4:5]
	;; [unrolled: 1-line block ×3, first 2 shown]
.LBB3_14:
	s_andn2_b64 vcc, exec, s[4:5]
	s_cbranch_vccnz .LBB3_17
; %bb.15:
	s_waitcnt lgkmcnt(0)
	global_load_dwordx2 v[5:6], v2, s[20:21]
	v_mov_b32_e32 v3, s21
	v_add_co_u32_e32 v1, vcc, s20, v2
	v_addc_co_u32_e32 v2, vcc, 0, v3, vcc
	v_mov_b32_e32 v7, s23
	v_add_co_u32_e32 v3, vcc, s22, v4
	v_addc_co_u32_e32 v4, vcc, 0, v7, vcc
	s_ashr_i32 s19, s18, 31
	s_ashr_i32 s39, s17, 31
	s_mov_b32 s38, s17
	v_mov_b32_e32 v8, s3
	v_add_co_u32_e32 v7, vcc, s2, v0
	s_lshl_b64 s[36:37], s[18:19], 3
	s_lshl_b64 s[38:39], s[38:39], 3
	v_addc_co_u32_e32 v8, vcc, 0, v8, vcc
	v_mov_b32_e32 v0, s37
	v_mov_b32_e32 v10, s39
	s_mov_b32 s8, s16
.LBB3_16:                               ; =>This Inner Loop Header: Depth=1
	global_load_dwordx2 v[11:12], v[3:4], off
	global_load_dwordx2 v[13:14], v[7:8], off
	v_add_co_u32_e32 v7, vcc, s36, v7
	v_addc_co_u32_e32 v8, vcc, v8, v0, vcc
	s_add_i32 s8, s8, -1
	v_add_co_u32_e32 v3, vcc, s38, v3
	v_addc_co_u32_e32 v4, vcc, v4, v10, vcc
	s_cmp_lg_u32 s8, 0
	s_waitcnt vmcnt(0)
	v_mad_u64_u32 v[5:6], s[42:43], v13, v11, v[5:6]
	v_mul_lo_u32 v12, v13, v12
	v_mul_lo_u32 v11, v14, v11
	v_add3_u32 v6, v11, v6, v12
	global_store_dwordx2 v[1:2], v[5:6], off
	s_cbranch_scc1 .LBB3_16
.LBB3_17:
	v_add_u32_e32 v9, 0x100, v9
	s_or_b64 exec, exec, s[34:35]
	v_cmp_gt_i32_e32 vcc, s41, v9
	s_and_saveexec_b64 s[34:35], vcc
	s_cbranch_execz .LBB3_2
.LBB3_18:
	s_and_b64 vcc, exec, s[0:1]
	s_cbranch_vccnz .LBB3_25
; %bb.19:
	v_mov_b32_e32 v2, 0
	s_andn2_b64 vcc, exec, s[30:31]
	v_mov_b32_e32 v4, 0
	v_mov_b32_e32 v0, 0
	s_cbranch_vccnz .LBB3_24
; %bb.20:
	s_add_i32 s8, s15, 1
	s_and_b32 s8, s8, 30
	s_add_u32 s36, s33, 0xffffffe8
	s_addc_u32 s37, s40, -1
	v_mov_b32_e32 v0, 0
	v_mov_b32_e32 v4, 0
	;; [unrolled: 1-line block ×4, first 2 shown]
.LBB3_21:                               ; =>This Inner Loop Header: Depth=1
	s_load_dwordx4 s[44:47], s[36:37], 0x1c
	s_load_dwordx2 s[38:39], s[36:37], 0x2c
	s_load_dwordx2 s[42:43], s[36:37], 0xec
	s_load_dwordx4 s[48:51], s[36:37], 0xdc
	s_add_u32 s36, s36, 24
	s_waitcnt lgkmcnt(0)
	v_mul_hi_u32 v3, s45, v1
	s_addc_u32 s37, s37, 0
	s_add_i32 s8, s8, -2
	s_cmp_eq_u32 s8, 0
	v_add_u32_e32 v3, v1, v3
	v_lshrrev_b32_e32 v3, s46, v3
	v_mul_lo_u32 v5, v3, s44
	v_mul_hi_u32 v6, s38, v3
	v_sub_u32_e32 v5, v1, v5
	v_add_u32_e32 v1, v3, v6
	v_lshrrev_b32_e32 v1, s39, v1
	v_mul_lo_u32 v8, v1, s47
	v_mul_lo_u32 v6, v5, s48
	;; [unrolled: 1-line block ×4, first 2 shown]
	v_sub_u32_e32 v3, v3, v8
	v_mul_lo_u32 v8, v3, s51
	v_mul_lo_u32 v10, v3, s42
	;; [unrolled: 1-line block ×3, first 2 shown]
	v_add3_u32 v2, v6, v2, v8
	v_add3_u32 v4, v7, v4, v10
	;; [unrolled: 1-line block ×3, first 2 shown]
	s_cbranch_scc0 .LBB3_21
; %bb.22:
	s_bitcmp1_b32 s15, 0
	s_cselect_b64 s[38:39], -1, 0
	s_and_b64 vcc, exec, s[38:39]
	s_cbranch_vccnz .LBB3_24
; %bb.23:
	s_load_dwordx2 s[38:39], s[36:37], 0x1c
	s_load_dword s8, s[36:37], 0x24
	s_load_dwordx2 s[42:43], s[36:37], 0xdc
	s_waitcnt lgkmcnt(0)
	v_mul_hi_u32 v3, s39, v1
	v_add_u32_e32 v3, v1, v3
	v_lshrrev_b32_e32 v3, s8, v3
	v_mul_lo_u32 v3, v3, s38
	s_load_dword s8, s[36:37], 0xe4
	v_sub_u32_e32 v1, v1, v3
	v_mad_u64_u32 v[2:3], s[36:37], v1, s42, v[2:3]
	v_mad_u64_u32 v[4:5], s[36:37], v1, s43, v[4:5]
	s_waitcnt lgkmcnt(0)
	v_mad_u64_u32 v[0:1], s[36:37], v1, s8, v[0:1]
.LBB3_24:
	s_cbranch_execz .LBB3_26
	s_branch .LBB3_28
.LBB3_25:
                                        ; implicit-def: $vgpr2
                                        ; implicit-def: $vgpr4
                                        ; implicit-def: $vgpr0
.LBB3_26:
	v_mul_hi_u32 v0, s10, v9
	s_andn2_b64 vcc, exec, s[28:29]
	v_add_u32_e32 v0, v9, v0
	v_lshrrev_b32_e32 v1, s11, v0
	v_mul_lo_u32 v0, v1, s9
	v_sub_u32_e32 v0, v9, v0
	v_mul_lo_u32 v2, v0, s24
	v_mul_lo_u32 v4, v0, s25
	;; [unrolled: 1-line block ×3, first 2 shown]
	s_cbranch_vccnz .LBB3_28
; %bb.27:
	v_mul_hi_u32 v3, s13, v1
	v_add_u32_e32 v3, v1, v3
	v_lshrrev_b32_e32 v3, s14, v3
	v_mul_lo_u32 v3, v3, s12
	v_sub_u32_e32 v1, v1, v3
	v_mad_u64_u32 v[2:3], s[36:37], v1, s27, v[2:3]
	v_mad_u64_u32 v[4:5], s[36:37], v1, s6, v[4:5]
	;; [unrolled: 1-line block ×3, first 2 shown]
.LBB3_28:
	s_andn2_b64 vcc, exec, s[4:5]
	s_cbranch_vccnz .LBB3_31
; %bb.29:
	s_waitcnt lgkmcnt(0)
	global_load_dwordx2 v[5:6], v2, s[20:21]
	v_mov_b32_e32 v3, s21
	v_add_co_u32_e32 v1, vcc, s20, v2
	v_addc_co_u32_e32 v2, vcc, 0, v3, vcc
	v_mov_b32_e32 v7, s23
	v_add_co_u32_e32 v3, vcc, s22, v4
	v_addc_co_u32_e32 v4, vcc, 0, v7, vcc
	s_ashr_i32 s19, s18, 31
	s_ashr_i32 s39, s17, 31
	s_mov_b32 s38, s17
	v_mov_b32_e32 v8, s3
	v_add_co_u32_e32 v7, vcc, s2, v0
	s_lshl_b64 s[36:37], s[18:19], 3
	s_lshl_b64 s[38:39], s[38:39], 3
	v_addc_co_u32_e32 v8, vcc, 0, v8, vcc
	v_mov_b32_e32 v0, s37
	v_mov_b32_e32 v10, s39
	s_mov_b32 s8, s16
.LBB3_30:                               ; =>This Inner Loop Header: Depth=1
	global_load_dwordx2 v[11:12], v[3:4], off
	global_load_dwordx2 v[13:14], v[7:8], off
	v_add_co_u32_e32 v7, vcc, s36, v7
	v_addc_co_u32_e32 v8, vcc, v8, v0, vcc
	s_add_i32 s8, s8, -1
	v_add_co_u32_e32 v3, vcc, s38, v3
	v_addc_co_u32_e32 v4, vcc, v4, v10, vcc
	s_cmp_lg_u32 s8, 0
	s_waitcnt vmcnt(0)
	v_mad_u64_u32 v[5:6], s[42:43], v13, v11, v[5:6]
	v_mul_lo_u32 v12, v13, v12
	v_mul_lo_u32 v11, v14, v11
	v_add3_u32 v6, v11, v6, v12
	global_store_dwordx2 v[1:2], v[5:6], off
	s_cbranch_scc1 .LBB3_30
.LBB3_31:
	v_add_u32_e32 v9, 0x100, v9
	s_or_b64 exec, exec, s[34:35]
	v_cmp_gt_i32_e32 vcc, s41, v9
	s_and_saveexec_b64 s[34:35], vcc
	s_cbranch_execz .LBB3_3
.LBB3_32:
	s_and_b64 vcc, exec, s[0:1]
	s_cbranch_vccnz .LBB3_39
; %bb.33:
	v_mov_b32_e32 v2, 0
	s_andn2_b64 vcc, exec, s[30:31]
	v_mov_b32_e32 v4, 0
	v_mov_b32_e32 v0, 0
	s_cbranch_vccnz .LBB3_38
; %bb.34:
	s_add_i32 s8, s15, 1
	s_and_b32 s8, s8, 30
	s_add_u32 s36, s33, 0xffffffe8
	s_addc_u32 s37, s40, -1
	v_mov_b32_e32 v0, 0
	v_mov_b32_e32 v4, 0
	;; [unrolled: 1-line block ×4, first 2 shown]
.LBB3_35:                               ; =>This Inner Loop Header: Depth=1
	s_load_dwordx4 s[44:47], s[36:37], 0x1c
	s_load_dwordx2 s[38:39], s[36:37], 0x2c
	s_load_dwordx2 s[42:43], s[36:37], 0xec
	s_load_dwordx4 s[48:51], s[36:37], 0xdc
	s_add_u32 s36, s36, 24
	s_waitcnt lgkmcnt(0)
	v_mul_hi_u32 v3, s45, v1
	s_addc_u32 s37, s37, 0
	s_add_i32 s8, s8, -2
	s_cmp_eq_u32 s8, 0
	v_add_u32_e32 v3, v1, v3
	v_lshrrev_b32_e32 v3, s46, v3
	v_mul_lo_u32 v5, v3, s44
	v_mul_hi_u32 v6, s38, v3
	v_sub_u32_e32 v5, v1, v5
	v_add_u32_e32 v1, v3, v6
	v_lshrrev_b32_e32 v1, s39, v1
	v_mul_lo_u32 v8, v1, s47
	v_mul_lo_u32 v6, v5, s48
	;; [unrolled: 1-line block ×4, first 2 shown]
	v_sub_u32_e32 v3, v3, v8
	v_mul_lo_u32 v8, v3, s51
	v_mul_lo_u32 v10, v3, s42
	;; [unrolled: 1-line block ×3, first 2 shown]
	v_add3_u32 v2, v6, v2, v8
	v_add3_u32 v4, v7, v4, v10
	;; [unrolled: 1-line block ×3, first 2 shown]
	s_cbranch_scc0 .LBB3_35
; %bb.36:
	s_bitcmp1_b32 s15, 0
	s_cselect_b64 s[38:39], -1, 0
	s_and_b64 vcc, exec, s[38:39]
	s_cbranch_vccnz .LBB3_38
; %bb.37:
	s_load_dwordx2 s[38:39], s[36:37], 0x1c
	s_load_dword s8, s[36:37], 0x24
	s_load_dwordx2 s[42:43], s[36:37], 0xdc
	s_waitcnt lgkmcnt(0)
	v_mul_hi_u32 v3, s39, v1
	v_add_u32_e32 v3, v1, v3
	v_lshrrev_b32_e32 v3, s8, v3
	v_mul_lo_u32 v3, v3, s38
	s_load_dword s8, s[36:37], 0xe4
	v_sub_u32_e32 v1, v1, v3
	v_mad_u64_u32 v[2:3], s[36:37], v1, s42, v[2:3]
	v_mad_u64_u32 v[4:5], s[36:37], v1, s43, v[4:5]
	s_waitcnt lgkmcnt(0)
	v_mad_u64_u32 v[0:1], s[36:37], v1, s8, v[0:1]
.LBB3_38:
	s_cbranch_execz .LBB3_40
	s_branch .LBB3_42
.LBB3_39:
                                        ; implicit-def: $vgpr2
                                        ; implicit-def: $vgpr4
                                        ; implicit-def: $vgpr0
.LBB3_40:
	v_mul_hi_u32 v0, s10, v9
	s_andn2_b64 vcc, exec, s[28:29]
	v_add_u32_e32 v0, v9, v0
	v_lshrrev_b32_e32 v1, s11, v0
	v_mul_lo_u32 v0, v1, s9
	v_sub_u32_e32 v0, v9, v0
	v_mul_lo_u32 v2, v0, s24
	v_mul_lo_u32 v4, v0, s25
	;; [unrolled: 1-line block ×3, first 2 shown]
	s_cbranch_vccnz .LBB3_42
; %bb.41:
	v_mul_hi_u32 v3, s13, v1
	v_add_u32_e32 v3, v1, v3
	v_lshrrev_b32_e32 v3, s14, v3
	v_mul_lo_u32 v3, v3, s12
	v_sub_u32_e32 v1, v1, v3
	v_mad_u64_u32 v[2:3], s[36:37], v1, s27, v[2:3]
	v_mad_u64_u32 v[4:5], s[36:37], v1, s6, v[4:5]
	;; [unrolled: 1-line block ×3, first 2 shown]
.LBB3_42:
	s_andn2_b64 vcc, exec, s[4:5]
	s_cbranch_vccnz .LBB3_45
; %bb.43:
	s_waitcnt lgkmcnt(0)
	global_load_dwordx2 v[5:6], v2, s[20:21]
	v_mov_b32_e32 v3, s21
	v_add_co_u32_e32 v1, vcc, s20, v2
	v_addc_co_u32_e32 v2, vcc, 0, v3, vcc
	v_mov_b32_e32 v7, s23
	v_add_co_u32_e32 v3, vcc, s22, v4
	v_addc_co_u32_e32 v4, vcc, 0, v7, vcc
	s_ashr_i32 s19, s18, 31
	s_ashr_i32 s39, s17, 31
	s_mov_b32 s38, s17
	v_mov_b32_e32 v8, s3
	v_add_co_u32_e32 v7, vcc, s2, v0
	s_lshl_b64 s[36:37], s[18:19], 3
	s_lshl_b64 s[38:39], s[38:39], 3
	v_addc_co_u32_e32 v8, vcc, 0, v8, vcc
	v_mov_b32_e32 v0, s37
	v_mov_b32_e32 v10, s39
	s_mov_b32 s8, s16
.LBB3_44:                               ; =>This Inner Loop Header: Depth=1
	global_load_dwordx2 v[11:12], v[3:4], off
	global_load_dwordx2 v[13:14], v[7:8], off
	v_add_co_u32_e32 v7, vcc, s36, v7
	v_addc_co_u32_e32 v8, vcc, v8, v0, vcc
	s_add_i32 s8, s8, -1
	v_add_co_u32_e32 v3, vcc, s38, v3
	v_addc_co_u32_e32 v4, vcc, v4, v10, vcc
	s_cmp_lg_u32 s8, 0
	s_waitcnt vmcnt(0)
	v_mad_u64_u32 v[5:6], s[42:43], v13, v11, v[5:6]
	v_mul_lo_u32 v12, v13, v12
	v_mul_lo_u32 v11, v14, v11
	v_add3_u32 v6, v11, v6, v12
	global_store_dwordx2 v[1:2], v[5:6], off
	s_cbranch_scc1 .LBB3_44
.LBB3_45:
	v_add_u32_e32 v9, 0x100, v9
	s_or_b64 exec, exec, s[34:35]
	v_cmp_gt_i32_e32 vcc, s41, v9
	s_and_saveexec_b64 s[34:35], vcc
	s_cbranch_execz .LBB3_59
.LBB3_46:
	s_and_b64 vcc, exec, s[0:1]
	s_cbranch_vccnz .LBB3_53
; %bb.47:
	v_mov_b32_e32 v2, 0
	s_andn2_b64 vcc, exec, s[30:31]
	v_mov_b32_e32 v4, 0
	v_mov_b32_e32 v0, 0
	s_cbranch_vccnz .LBB3_52
; %bb.48:
	s_add_i32 s0, s15, 1
	s_and_b32 s8, s0, 30
	s_add_u32 s0, s33, 0xffffffe8
	s_addc_u32 s1, s40, -1
	v_mov_b32_e32 v0, 0
	v_mov_b32_e32 v4, 0
	v_mov_b32_e32 v2, 0
	v_mov_b32_e32 v1, v9
.LBB3_49:                               ; =>This Inner Loop Header: Depth=1
	s_load_dwordx4 s[36:39], s[0:1], 0x1c
	s_load_dwordx2 s[30:31], s[0:1], 0x2c
	s_load_dwordx2 s[34:35], s[0:1], 0xec
	s_load_dwordx4 s[40:43], s[0:1], 0xdc
	s_add_u32 s0, s0, 24
	s_waitcnt lgkmcnt(0)
	v_mul_hi_u32 v3, s37, v1
	s_addc_u32 s1, s1, 0
	s_add_i32 s8, s8, -2
	s_cmp_eq_u32 s8, 0
	v_add_u32_e32 v3, v1, v3
	v_lshrrev_b32_e32 v3, s38, v3
	v_mul_lo_u32 v5, v3, s36
	v_mul_hi_u32 v6, s30, v3
	v_sub_u32_e32 v5, v1, v5
	v_add_u32_e32 v1, v3, v6
	v_lshrrev_b32_e32 v1, s31, v1
	v_mul_lo_u32 v8, v1, s39
	v_mul_lo_u32 v6, v5, s40
	;; [unrolled: 1-line block ×4, first 2 shown]
	v_sub_u32_e32 v3, v3, v8
	v_mul_lo_u32 v8, v3, s43
	v_mul_lo_u32 v10, v3, s34
	;; [unrolled: 1-line block ×3, first 2 shown]
	v_add3_u32 v2, v6, v2, v8
	v_add3_u32 v4, v7, v4, v10
	;; [unrolled: 1-line block ×3, first 2 shown]
	s_cbranch_scc0 .LBB3_49
; %bb.50:
	s_bitcmp1_b32 s15, 0
	s_cselect_b64 s[30:31], -1, 0
	s_and_b64 vcc, exec, s[30:31]
	s_cbranch_vccnz .LBB3_52
; %bb.51:
	s_load_dwordx2 s[30:31], s[0:1], 0x1c
	s_load_dword s8, s[0:1], 0x24
	s_load_dwordx2 s[34:35], s[0:1], 0xdc
	s_waitcnt lgkmcnt(0)
	v_mul_hi_u32 v3, s31, v1
	v_add_u32_e32 v3, v1, v3
	v_lshrrev_b32_e32 v3, s8, v3
	v_mul_lo_u32 v3, v3, s30
	s_load_dword s8, s[0:1], 0xe4
	v_sub_u32_e32 v1, v1, v3
	v_mad_u64_u32 v[2:3], s[0:1], v1, s34, v[2:3]
	v_mad_u64_u32 v[4:5], s[0:1], v1, s35, v[4:5]
	s_waitcnt lgkmcnt(0)
	v_mad_u64_u32 v[0:1], s[0:1], v1, s8, v[0:1]
.LBB3_52:
	s_cbranch_execz .LBB3_54
	s_branch .LBB3_56
.LBB3_53:
                                        ; implicit-def: $vgpr2
                                        ; implicit-def: $vgpr4
                                        ; implicit-def: $vgpr0
.LBB3_54:
	v_mul_hi_u32 v0, s10, v9
	s_andn2_b64 vcc, exec, s[28:29]
	v_add_u32_e32 v0, v9, v0
	v_lshrrev_b32_e32 v1, s11, v0
	v_mul_lo_u32 v0, v1, s9
	v_sub_u32_e32 v0, v9, v0
	v_mul_lo_u32 v2, v0, s24
	v_mul_lo_u32 v4, v0, s25
	;; [unrolled: 1-line block ×3, first 2 shown]
	s_cbranch_vccnz .LBB3_56
; %bb.55:
	v_mul_hi_u32 v3, s13, v1
	v_add_u32_e32 v3, v1, v3
	v_lshrrev_b32_e32 v3, s14, v3
	v_mul_lo_u32 v3, v3, s12
	v_sub_u32_e32 v1, v1, v3
	v_mad_u64_u32 v[2:3], s[0:1], v1, s27, v[2:3]
	v_mad_u64_u32 v[4:5], s[0:1], v1, s6, v[4:5]
	v_mad_u64_u32 v[0:1], s[0:1], v1, s7, v[0:1]
.LBB3_56:
	s_andn2_b64 vcc, exec, s[4:5]
	s_cbranch_vccnz .LBB3_59
; %bb.57:
	s_waitcnt lgkmcnt(0)
	global_load_dwordx2 v[5:6], v2, s[20:21]
	v_mov_b32_e32 v3, s21
	v_add_co_u32_e32 v1, vcc, s20, v2
	v_addc_co_u32_e32 v2, vcc, 0, v3, vcc
	v_mov_b32_e32 v7, s23
	v_add_co_u32_e32 v3, vcc, s22, v4
	v_addc_co_u32_e32 v4, vcc, 0, v7, vcc
	v_mov_b32_e32 v8, s3
	v_add_co_u32_e32 v7, vcc, s2, v0
	s_ashr_i32 s19, s18, 31
	s_ashr_i32 s3, s17, 31
	s_mov_b32 s2, s17
	s_lshl_b64 s[0:1], s[18:19], 3
	s_lshl_b64 s[2:3], s[2:3], 3
	v_addc_co_u32_e32 v8, vcc, 0, v8, vcc
	v_mov_b32_e32 v0, s1
	v_mov_b32_e32 v9, s3
.LBB3_58:                               ; =>This Inner Loop Header: Depth=1
	global_load_dwordx2 v[10:11], v[3:4], off
	global_load_dwordx2 v[12:13], v[7:8], off
	v_add_co_u32_e32 v7, vcc, s0, v7
	v_addc_co_u32_e32 v8, vcc, v8, v0, vcc
	s_add_i32 s16, s16, -1
	v_add_co_u32_e32 v3, vcc, s2, v3
	v_addc_co_u32_e32 v4, vcc, v4, v9, vcc
	s_cmp_lg_u32 s16, 0
	s_waitcnt vmcnt(0)
	v_mad_u64_u32 v[5:6], s[4:5], v12, v10, v[5:6]
	v_mul_lo_u32 v11, v12, v11
	v_mul_lo_u32 v10, v13, v10
	v_add3_u32 v6, v10, v6, v11
	global_store_dwordx2 v[1:2], v[5:6], off
	s_cbranch_scc1 .LBB3_58
.LBB3_59:
	s_endpgm
	.section	.rodata,"a",@progbits
	.p2align	6, 0x0
	.amdhsa_kernel _ZN2at6native12_GLOBAL__N_116_elemwise_kernelILi256ELi4EZNS1_43_compute_linear_combination_internal_kernelIlEEvRNS_14TensorIteratorEiiiEUliE_EEviT1_
		.amdhsa_group_segment_fixed_size 0
		.amdhsa_private_segment_fixed_size 0
		.amdhsa_kernarg_size 440
		.amdhsa_user_sgpr_count 6
		.amdhsa_user_sgpr_private_segment_buffer 1
		.amdhsa_user_sgpr_dispatch_ptr 0
		.amdhsa_user_sgpr_queue_ptr 0
		.amdhsa_user_sgpr_kernarg_segment_ptr 1
		.amdhsa_user_sgpr_dispatch_id 0
		.amdhsa_user_sgpr_flat_scratch_init 0
		.amdhsa_user_sgpr_private_segment_size 0
		.amdhsa_uses_dynamic_stack 0
		.amdhsa_system_sgpr_private_segment_wavefront_offset 0
		.amdhsa_system_sgpr_workgroup_id_x 1
		.amdhsa_system_sgpr_workgroup_id_y 0
		.amdhsa_system_sgpr_workgroup_id_z 0
		.amdhsa_system_sgpr_workgroup_info 0
		.amdhsa_system_vgpr_workitem_id 0
		.amdhsa_next_free_vgpr 15
		.amdhsa_next_free_sgpr 52
		.amdhsa_reserve_vcc 1
		.amdhsa_reserve_flat_scratch 0
		.amdhsa_float_round_mode_32 0
		.amdhsa_float_round_mode_16_64 0
		.amdhsa_float_denorm_mode_32 3
		.amdhsa_float_denorm_mode_16_64 3
		.amdhsa_dx10_clamp 1
		.amdhsa_ieee_mode 1
		.amdhsa_fp16_overflow 0
		.amdhsa_exception_fp_ieee_invalid_op 0
		.amdhsa_exception_fp_denorm_src 0
		.amdhsa_exception_fp_ieee_div_zero 0
		.amdhsa_exception_fp_ieee_overflow 0
		.amdhsa_exception_fp_ieee_underflow 0
		.amdhsa_exception_fp_ieee_inexact 0
		.amdhsa_exception_int_div_zero 0
	.end_amdhsa_kernel
	.section	.text._ZN2at6native12_GLOBAL__N_116_elemwise_kernelILi256ELi4EZNS1_43_compute_linear_combination_internal_kernelIlEEvRNS_14TensorIteratorEiiiEUliE_EEviT1_,"axG",@progbits,_ZN2at6native12_GLOBAL__N_116_elemwise_kernelILi256ELi4EZNS1_43_compute_linear_combination_internal_kernelIlEEvRNS_14TensorIteratorEiiiEUliE_EEviT1_,comdat
.Lfunc_end3:
	.size	_ZN2at6native12_GLOBAL__N_116_elemwise_kernelILi256ELi4EZNS1_43_compute_linear_combination_internal_kernelIlEEvRNS_14TensorIteratorEiiiEUliE_EEviT1_, .Lfunc_end3-_ZN2at6native12_GLOBAL__N_116_elemwise_kernelILi256ELi4EZNS1_43_compute_linear_combination_internal_kernelIlEEvRNS_14TensorIteratorEiiiEUliE_EEviT1_
                                        ; -- End function
	.set _ZN2at6native12_GLOBAL__N_116_elemwise_kernelILi256ELi4EZNS1_43_compute_linear_combination_internal_kernelIlEEvRNS_14TensorIteratorEiiiEUliE_EEviT1_.num_vgpr, 15
	.set _ZN2at6native12_GLOBAL__N_116_elemwise_kernelILi256ELi4EZNS1_43_compute_linear_combination_internal_kernelIlEEvRNS_14TensorIteratorEiiiEUliE_EEviT1_.num_agpr, 0
	.set _ZN2at6native12_GLOBAL__N_116_elemwise_kernelILi256ELi4EZNS1_43_compute_linear_combination_internal_kernelIlEEvRNS_14TensorIteratorEiiiEUliE_EEviT1_.numbered_sgpr, 52
	.set _ZN2at6native12_GLOBAL__N_116_elemwise_kernelILi256ELi4EZNS1_43_compute_linear_combination_internal_kernelIlEEvRNS_14TensorIteratorEiiiEUliE_EEviT1_.num_named_barrier, 0
	.set _ZN2at6native12_GLOBAL__N_116_elemwise_kernelILi256ELi4EZNS1_43_compute_linear_combination_internal_kernelIlEEvRNS_14TensorIteratorEiiiEUliE_EEviT1_.private_seg_size, 0
	.set _ZN2at6native12_GLOBAL__N_116_elemwise_kernelILi256ELi4EZNS1_43_compute_linear_combination_internal_kernelIlEEvRNS_14TensorIteratorEiiiEUliE_EEviT1_.uses_vcc, 1
	.set _ZN2at6native12_GLOBAL__N_116_elemwise_kernelILi256ELi4EZNS1_43_compute_linear_combination_internal_kernelIlEEvRNS_14TensorIteratorEiiiEUliE_EEviT1_.uses_flat_scratch, 0
	.set _ZN2at6native12_GLOBAL__N_116_elemwise_kernelILi256ELi4EZNS1_43_compute_linear_combination_internal_kernelIlEEvRNS_14TensorIteratorEiiiEUliE_EEviT1_.has_dyn_sized_stack, 0
	.set _ZN2at6native12_GLOBAL__N_116_elemwise_kernelILi256ELi4EZNS1_43_compute_linear_combination_internal_kernelIlEEvRNS_14TensorIteratorEiiiEUliE_EEviT1_.has_recursion, 0
	.set _ZN2at6native12_GLOBAL__N_116_elemwise_kernelILi256ELi4EZNS1_43_compute_linear_combination_internal_kernelIlEEvRNS_14TensorIteratorEiiiEUliE_EEviT1_.has_indirect_call, 0
	.section	.AMDGPU.csdata,"",@progbits
; Kernel info:
; codeLenInByte = 2888
; TotalNumSgprs: 56
; NumVgprs: 15
; ScratchSize: 0
; MemoryBound: 0
; FloatMode: 240
; IeeeMode: 1
; LDSByteSize: 0 bytes/workgroup (compile time only)
; SGPRBlocks: 6
; VGPRBlocks: 3
; NumSGPRsForWavesPerEU: 56
; NumVGPRsForWavesPerEU: 15
; Occupancy: 10
; WaveLimiterHint : 1
; COMPUTE_PGM_RSRC2:SCRATCH_EN: 0
; COMPUTE_PGM_RSRC2:USER_SGPR: 6
; COMPUTE_PGM_RSRC2:TRAP_HANDLER: 0
; COMPUTE_PGM_RSRC2:TGID_X_EN: 1
; COMPUTE_PGM_RSRC2:TGID_Y_EN: 0
; COMPUTE_PGM_RSRC2:TGID_Z_EN: 0
; COMPUTE_PGM_RSRC2:TIDIG_COMP_CNT: 0
	.section	.text._ZN2at6native12_GLOBAL__N_116_elemwise_kernelILi256ELi4EZNS1_43_compute_linear_combination_internal_kernelIsEEvRNS_14TensorIteratorEiiiEUliE_EEviT1_,"axG",@progbits,_ZN2at6native12_GLOBAL__N_116_elemwise_kernelILi256ELi4EZNS1_43_compute_linear_combination_internal_kernelIsEEvRNS_14TensorIteratorEiiiEUliE_EEviT1_,comdat
	.globl	_ZN2at6native12_GLOBAL__N_116_elemwise_kernelILi256ELi4EZNS1_43_compute_linear_combination_internal_kernelIsEEvRNS_14TensorIteratorEiiiEUliE_EEviT1_ ; -- Begin function _ZN2at6native12_GLOBAL__N_116_elemwise_kernelILi256ELi4EZNS1_43_compute_linear_combination_internal_kernelIsEEvRNS_14TensorIteratorEiiiEUliE_EEviT1_
	.p2align	8
	.type	_ZN2at6native12_GLOBAL__N_116_elemwise_kernelILi256ELi4EZNS1_43_compute_linear_combination_internal_kernelIsEEvRNS_14TensorIteratorEiiiEUliE_EEviT1_,@function
_ZN2at6native12_GLOBAL__N_116_elemwise_kernelILi256ELi4EZNS1_43_compute_linear_combination_internal_kernelIsEEvRNS_14TensorIteratorEiiiEUliE_EEviT1_: ; @_ZN2at6native12_GLOBAL__N_116_elemwise_kernelILi256ELi4EZNS1_43_compute_linear_combination_internal_kernelIsEEvRNS_14TensorIteratorEiiiEUliE_EEviT1_
; %bb.0:
	s_load_dword s41, s[4:5], 0x0
	s_load_dwordx8 s[8:15], s[4:5], 0x8
	v_lshl_or_b32 v7, s6, 10, v0
	s_load_dwordx4 s[24:27], s[4:5], 0xcc
	s_load_dwordx2 s[6:7], s[4:5], 0xdc
	s_load_dwordx4 s[16:19], s[4:5], 0x1a8
	s_add_u32 s33, s4, 8
	s_addc_u32 s40, s5, 0
	s_waitcnt lgkmcnt(0)
	v_sub_co_u32_e64 v0, s[0:1], s8, 1
	s_xor_b64 s[30:31], s[0:1], -1
	v_readfirstlane_b32 s0, v0
	s_load_dwordx2 s[2:3], s[4:5], 0x1a0
	s_load_dwordx4 s[20:23], s[4:5], 0x190
	s_min_u32 s15, s0, 15
	s_cmp_gt_u32 s8, 1
	v_cmp_lt_u32_e64 s[0:1], 1, v0
	s_cselect_b64 s[28:29], -1, 0
	s_cmp_gt_i32 s16, 0
	v_cndmask_b32_e64 v0, 0, 1, s[0:1]
	s_mov_b64 s[36:37], -1
	s_cselect_b64 s[4:5], -1, 0
	v_cmp_gt_i32_e32 vcc, s41, v7
	v_cmp_ne_u32_e64 s[0:1], 1, v0
	s_and_saveexec_b64 s[34:35], vcc
	s_cbranch_execnz .LBB4_4
; %bb.1:
	s_or_b64 exec, exec, s[34:35]
	v_cmp_gt_i32_e32 vcc, s41, v7
	s_and_saveexec_b64 s[34:35], vcc
	s_cbranch_execnz .LBB4_18
.LBB4_2:
	s_or_b64 exec, exec, s[34:35]
	v_cmp_gt_i32_e32 vcc, s41, v7
	s_and_saveexec_b64 s[34:35], vcc
	s_cbranch_execnz .LBB4_32
.LBB4_3:
	s_or_b64 exec, exec, s[34:35]
	v_cmp_gt_i32_e32 vcc, s41, v7
	s_and_saveexec_b64 s[34:35], vcc
	s_cbranch_execnz .LBB4_46
	s_branch .LBB4_59
.LBB4_4:
	s_and_b64 vcc, exec, s[0:1]
                                        ; implicit-def: $vgpr2
                                        ; implicit-def: $vgpr4
                                        ; implicit-def: $vgpr0
	s_cbranch_vccnz .LBB4_11
; %bb.5:
	v_mov_b32_e32 v2, 0
	s_andn2_b64 vcc, exec, s[30:31]
	v_mov_b32_e32 v4, 0
	v_mov_b32_e32 v0, 0
	s_cbranch_vccnz .LBB4_10
; %bb.6:
	s_add_i32 s8, s15, 1
	s_and_b32 s8, s8, 30
	s_add_u32 s36, s33, 0xffffffe8
	s_addc_u32 s37, s40, -1
	v_mov_b32_e32 v0, 0
	v_mov_b32_e32 v4, 0
	;; [unrolled: 1-line block ×4, first 2 shown]
.LBB4_7:                                ; =>This Inner Loop Header: Depth=1
	s_load_dwordx4 s[44:47], s[36:37], 0x1c
	s_load_dwordx2 s[38:39], s[36:37], 0x2c
	s_load_dwordx2 s[42:43], s[36:37], 0xec
	s_load_dwordx4 s[48:51], s[36:37], 0xdc
	s_add_u32 s36, s36, 24
	s_waitcnt lgkmcnt(0)
	v_mul_hi_u32 v3, s45, v1
	s_addc_u32 s37, s37, 0
	s_add_i32 s8, s8, -2
	s_cmp_lg_u32 s8, 0
	v_add_u32_e32 v3, v1, v3
	v_lshrrev_b32_e32 v3, s46, v3
	v_mul_lo_u32 v5, v3, s44
	v_mul_hi_u32 v6, s38, v3
	v_sub_u32_e32 v5, v1, v5
	v_add_u32_e32 v1, v3, v6
	v_lshrrev_b32_e32 v1, s39, v1
	v_mul_lo_u32 v9, v1, s47
	v_mul_lo_u32 v6, v5, s48
	;; [unrolled: 1-line block ×4, first 2 shown]
	v_sub_u32_e32 v3, v3, v9
	v_mul_lo_u32 v9, v3, s51
	v_mul_lo_u32 v10, v3, s42
	;; [unrolled: 1-line block ×3, first 2 shown]
	v_add3_u32 v2, v6, v2, v9
	v_add3_u32 v4, v8, v4, v10
	;; [unrolled: 1-line block ×3, first 2 shown]
	s_cbranch_scc1 .LBB4_7
; %bb.8:
	s_bitcmp1_b32 s15, 0
	s_cselect_b64 s[38:39], -1, 0
	s_and_b64 vcc, exec, s[38:39]
	s_cbranch_vccnz .LBB4_10
; %bb.9:
	s_load_dwordx2 s[38:39], s[36:37], 0x1c
	s_load_dword s8, s[36:37], 0x24
	s_load_dwordx2 s[42:43], s[36:37], 0xdc
	s_waitcnt lgkmcnt(0)
	v_mul_hi_u32 v3, s39, v1
	v_add_u32_e32 v3, v1, v3
	v_lshrrev_b32_e32 v3, s8, v3
	v_mul_lo_u32 v3, v3, s38
	s_load_dword s8, s[36:37], 0xe4
	v_sub_u32_e32 v1, v1, v3
	v_mad_u64_u32 v[2:3], s[36:37], v1, s42, v[2:3]
	v_mad_u64_u32 v[4:5], s[36:37], v1, s43, v[4:5]
	s_waitcnt lgkmcnt(0)
	v_mad_u64_u32 v[0:1], s[36:37], v1, s8, v[0:1]
.LBB4_10:
	s_mov_b64 s[36:37], 0
.LBB4_11:
	s_andn2_b64 vcc, exec, s[36:37]
	s_cbranch_vccnz .LBB4_14
; %bb.12:
	v_mul_hi_u32 v0, s10, v7
	s_andn2_b64 vcc, exec, s[28:29]
	v_add_u32_e32 v0, v7, v0
	v_lshrrev_b32_e32 v1, s11, v0
	v_mul_lo_u32 v0, v1, s9
	v_sub_u32_e32 v0, v7, v0
	v_mul_lo_u32 v2, v0, s24
	v_mul_lo_u32 v4, v0, s25
	;; [unrolled: 1-line block ×3, first 2 shown]
	s_cbranch_vccnz .LBB4_14
; %bb.13:
	v_mul_hi_u32 v3, s13, v1
	v_add_u32_e32 v3, v1, v3
	v_lshrrev_b32_e32 v3, s14, v3
	v_mul_lo_u32 v3, v3, s12
	v_sub_u32_e32 v1, v1, v3
	v_mad_u64_u32 v[2:3], s[36:37], v1, s27, v[2:3]
	v_mad_u64_u32 v[4:5], s[36:37], v1, s6, v[4:5]
	;; [unrolled: 1-line block ×3, first 2 shown]
.LBB4_14:
	s_andn2_b64 vcc, exec, s[4:5]
	s_cbranch_vccnz .LBB4_17
; %bb.15:
	s_waitcnt lgkmcnt(0)
	global_load_ushort v8, v2, s[20:21]
	v_mov_b32_e32 v3, s21
	v_add_co_u32_e32 v1, vcc, s20, v2
	v_addc_co_u32_e32 v2, vcc, 0, v3, vcc
	v_mov_b32_e32 v5, s23
	v_add_co_u32_e32 v3, vcc, s22, v4
	v_addc_co_u32_e32 v4, vcc, 0, v5, vcc
	s_ashr_i32 s19, s18, 31
	s_ashr_i32 s39, s17, 31
	s_mov_b32 s38, s17
	v_mov_b32_e32 v6, s3
	v_add_co_u32_e32 v5, vcc, s2, v0
	s_lshl_b64 s[36:37], s[18:19], 1
	s_lshl_b64 s[38:39], s[38:39], 1
	v_addc_co_u32_e32 v6, vcc, 0, v6, vcc
	v_mov_b32_e32 v0, s37
	v_mov_b32_e32 v9, s39
	s_mov_b32 s8, s16
.LBB4_16:                               ; =>This Inner Loop Header: Depth=1
	global_load_ushort v10, v[3:4], off
	global_load_ushort v11, v[5:6], off
	v_add_co_u32_e32 v5, vcc, s36, v5
	v_addc_co_u32_e32 v6, vcc, v6, v0, vcc
	s_add_i32 s8, s8, -1
	v_add_co_u32_e32 v3, vcc, s38, v3
	v_addc_co_u32_e32 v4, vcc, v4, v9, vcc
	s_cmp_lg_u32 s8, 0
	s_waitcnt vmcnt(0)
	v_mad_legacy_u16 v8, v11, v10, v8
	global_store_short v[1:2], v8, off
	s_cbranch_scc1 .LBB4_16
.LBB4_17:
	v_add_u32_e32 v7, 0x100, v7
	s_or_b64 exec, exec, s[34:35]
	v_cmp_gt_i32_e32 vcc, s41, v7
	s_and_saveexec_b64 s[34:35], vcc
	s_cbranch_execz .LBB4_2
.LBB4_18:
	s_and_b64 vcc, exec, s[0:1]
	s_cbranch_vccnz .LBB4_25
; %bb.19:
	v_mov_b32_e32 v2, 0
	s_andn2_b64 vcc, exec, s[30:31]
	v_mov_b32_e32 v4, 0
	v_mov_b32_e32 v0, 0
	s_cbranch_vccnz .LBB4_24
; %bb.20:
	s_add_i32 s8, s15, 1
	s_and_b32 s8, s8, 30
	s_add_u32 s36, s33, 0xffffffe8
	s_addc_u32 s37, s40, -1
	v_mov_b32_e32 v0, 0
	v_mov_b32_e32 v4, 0
	;; [unrolled: 1-line block ×4, first 2 shown]
.LBB4_21:                               ; =>This Inner Loop Header: Depth=1
	s_load_dwordx4 s[44:47], s[36:37], 0x1c
	s_load_dwordx2 s[38:39], s[36:37], 0x2c
	s_load_dwordx2 s[42:43], s[36:37], 0xec
	s_load_dwordx4 s[48:51], s[36:37], 0xdc
	s_add_u32 s36, s36, 24
	s_waitcnt lgkmcnt(0)
	v_mul_hi_u32 v3, s45, v1
	s_addc_u32 s37, s37, 0
	s_add_i32 s8, s8, -2
	s_cmp_eq_u32 s8, 0
	v_add_u32_e32 v3, v1, v3
	v_lshrrev_b32_e32 v3, s46, v3
	v_mul_lo_u32 v5, v3, s44
	v_mul_hi_u32 v6, s38, v3
	v_sub_u32_e32 v5, v1, v5
	v_add_u32_e32 v1, v3, v6
	v_lshrrev_b32_e32 v1, s39, v1
	v_mul_lo_u32 v9, v1, s47
	v_mul_lo_u32 v6, v5, s48
	;; [unrolled: 1-line block ×4, first 2 shown]
	v_sub_u32_e32 v3, v3, v9
	v_mul_lo_u32 v9, v3, s51
	v_mul_lo_u32 v10, v3, s42
	;; [unrolled: 1-line block ×3, first 2 shown]
	v_add3_u32 v2, v6, v2, v9
	v_add3_u32 v4, v8, v4, v10
	;; [unrolled: 1-line block ×3, first 2 shown]
	s_cbranch_scc0 .LBB4_21
; %bb.22:
	s_bitcmp1_b32 s15, 0
	s_cselect_b64 s[38:39], -1, 0
	s_and_b64 vcc, exec, s[38:39]
	s_cbranch_vccnz .LBB4_24
; %bb.23:
	s_load_dwordx2 s[38:39], s[36:37], 0x1c
	s_load_dword s8, s[36:37], 0x24
	s_load_dwordx2 s[42:43], s[36:37], 0xdc
	s_waitcnt lgkmcnt(0)
	v_mul_hi_u32 v3, s39, v1
	v_add_u32_e32 v3, v1, v3
	v_lshrrev_b32_e32 v3, s8, v3
	v_mul_lo_u32 v3, v3, s38
	s_load_dword s8, s[36:37], 0xe4
	v_sub_u32_e32 v1, v1, v3
	v_mad_u64_u32 v[2:3], s[36:37], v1, s42, v[2:3]
	v_mad_u64_u32 v[4:5], s[36:37], v1, s43, v[4:5]
	s_waitcnt lgkmcnt(0)
	v_mad_u64_u32 v[0:1], s[36:37], v1, s8, v[0:1]
.LBB4_24:
	s_cbranch_execz .LBB4_26
	s_branch .LBB4_28
.LBB4_25:
                                        ; implicit-def: $vgpr2
                                        ; implicit-def: $vgpr4
                                        ; implicit-def: $vgpr0
.LBB4_26:
	v_mul_hi_u32 v0, s10, v7
	s_andn2_b64 vcc, exec, s[28:29]
	v_add_u32_e32 v0, v7, v0
	v_lshrrev_b32_e32 v1, s11, v0
	v_mul_lo_u32 v0, v1, s9
	v_sub_u32_e32 v0, v7, v0
	v_mul_lo_u32 v2, v0, s24
	v_mul_lo_u32 v4, v0, s25
	;; [unrolled: 1-line block ×3, first 2 shown]
	s_cbranch_vccnz .LBB4_28
; %bb.27:
	v_mul_hi_u32 v3, s13, v1
	v_add_u32_e32 v3, v1, v3
	v_lshrrev_b32_e32 v3, s14, v3
	v_mul_lo_u32 v3, v3, s12
	v_sub_u32_e32 v1, v1, v3
	v_mad_u64_u32 v[2:3], s[36:37], v1, s27, v[2:3]
	v_mad_u64_u32 v[4:5], s[36:37], v1, s6, v[4:5]
	;; [unrolled: 1-line block ×3, first 2 shown]
.LBB4_28:
	s_andn2_b64 vcc, exec, s[4:5]
	s_cbranch_vccnz .LBB4_31
; %bb.29:
	s_waitcnt lgkmcnt(0)
	global_load_ushort v8, v2, s[20:21]
	v_mov_b32_e32 v3, s21
	v_add_co_u32_e32 v1, vcc, s20, v2
	v_addc_co_u32_e32 v2, vcc, 0, v3, vcc
	v_mov_b32_e32 v5, s23
	v_add_co_u32_e32 v3, vcc, s22, v4
	v_addc_co_u32_e32 v4, vcc, 0, v5, vcc
	s_ashr_i32 s19, s18, 31
	s_ashr_i32 s39, s17, 31
	s_mov_b32 s38, s17
	v_mov_b32_e32 v6, s3
	v_add_co_u32_e32 v5, vcc, s2, v0
	s_lshl_b64 s[36:37], s[18:19], 1
	s_lshl_b64 s[38:39], s[38:39], 1
	v_addc_co_u32_e32 v6, vcc, 0, v6, vcc
	v_mov_b32_e32 v0, s37
	v_mov_b32_e32 v9, s39
	s_mov_b32 s8, s16
.LBB4_30:                               ; =>This Inner Loop Header: Depth=1
	global_load_ushort v10, v[3:4], off
	global_load_ushort v11, v[5:6], off
	v_add_co_u32_e32 v5, vcc, s36, v5
	v_addc_co_u32_e32 v6, vcc, v6, v0, vcc
	s_add_i32 s8, s8, -1
	v_add_co_u32_e32 v3, vcc, s38, v3
	v_addc_co_u32_e32 v4, vcc, v4, v9, vcc
	s_cmp_lg_u32 s8, 0
	s_waitcnt vmcnt(0)
	v_mad_legacy_u16 v8, v11, v10, v8
	global_store_short v[1:2], v8, off
	s_cbranch_scc1 .LBB4_30
.LBB4_31:
	v_add_u32_e32 v7, 0x100, v7
	s_or_b64 exec, exec, s[34:35]
	v_cmp_gt_i32_e32 vcc, s41, v7
	s_and_saveexec_b64 s[34:35], vcc
	s_cbranch_execz .LBB4_3
.LBB4_32:
	s_and_b64 vcc, exec, s[0:1]
	s_cbranch_vccnz .LBB4_39
; %bb.33:
	v_mov_b32_e32 v2, 0
	s_andn2_b64 vcc, exec, s[30:31]
	v_mov_b32_e32 v4, 0
	v_mov_b32_e32 v0, 0
	s_cbranch_vccnz .LBB4_38
; %bb.34:
	s_add_i32 s8, s15, 1
	s_and_b32 s8, s8, 30
	s_add_u32 s36, s33, 0xffffffe8
	s_addc_u32 s37, s40, -1
	v_mov_b32_e32 v0, 0
	v_mov_b32_e32 v4, 0
	;; [unrolled: 1-line block ×4, first 2 shown]
.LBB4_35:                               ; =>This Inner Loop Header: Depth=1
	s_load_dwordx4 s[44:47], s[36:37], 0x1c
	s_load_dwordx2 s[38:39], s[36:37], 0x2c
	s_load_dwordx2 s[42:43], s[36:37], 0xec
	s_load_dwordx4 s[48:51], s[36:37], 0xdc
	s_add_u32 s36, s36, 24
	s_waitcnt lgkmcnt(0)
	v_mul_hi_u32 v3, s45, v1
	s_addc_u32 s37, s37, 0
	s_add_i32 s8, s8, -2
	s_cmp_eq_u32 s8, 0
	v_add_u32_e32 v3, v1, v3
	v_lshrrev_b32_e32 v3, s46, v3
	v_mul_lo_u32 v5, v3, s44
	v_mul_hi_u32 v6, s38, v3
	v_sub_u32_e32 v5, v1, v5
	v_add_u32_e32 v1, v3, v6
	v_lshrrev_b32_e32 v1, s39, v1
	v_mul_lo_u32 v9, v1, s47
	v_mul_lo_u32 v6, v5, s48
	;; [unrolled: 1-line block ×4, first 2 shown]
	v_sub_u32_e32 v3, v3, v9
	v_mul_lo_u32 v9, v3, s51
	v_mul_lo_u32 v10, v3, s42
	;; [unrolled: 1-line block ×3, first 2 shown]
	v_add3_u32 v2, v6, v2, v9
	v_add3_u32 v4, v8, v4, v10
	;; [unrolled: 1-line block ×3, first 2 shown]
	s_cbranch_scc0 .LBB4_35
; %bb.36:
	s_bitcmp1_b32 s15, 0
	s_cselect_b64 s[38:39], -1, 0
	s_and_b64 vcc, exec, s[38:39]
	s_cbranch_vccnz .LBB4_38
; %bb.37:
	s_load_dwordx2 s[38:39], s[36:37], 0x1c
	s_load_dword s8, s[36:37], 0x24
	s_load_dwordx2 s[42:43], s[36:37], 0xdc
	s_waitcnt lgkmcnt(0)
	v_mul_hi_u32 v3, s39, v1
	v_add_u32_e32 v3, v1, v3
	v_lshrrev_b32_e32 v3, s8, v3
	v_mul_lo_u32 v3, v3, s38
	s_load_dword s8, s[36:37], 0xe4
	v_sub_u32_e32 v1, v1, v3
	v_mad_u64_u32 v[2:3], s[36:37], v1, s42, v[2:3]
	v_mad_u64_u32 v[4:5], s[36:37], v1, s43, v[4:5]
	s_waitcnt lgkmcnt(0)
	v_mad_u64_u32 v[0:1], s[36:37], v1, s8, v[0:1]
.LBB4_38:
	s_cbranch_execz .LBB4_40
	s_branch .LBB4_42
.LBB4_39:
                                        ; implicit-def: $vgpr2
                                        ; implicit-def: $vgpr4
                                        ; implicit-def: $vgpr0
.LBB4_40:
	v_mul_hi_u32 v0, s10, v7
	s_andn2_b64 vcc, exec, s[28:29]
	v_add_u32_e32 v0, v7, v0
	v_lshrrev_b32_e32 v1, s11, v0
	v_mul_lo_u32 v0, v1, s9
	v_sub_u32_e32 v0, v7, v0
	v_mul_lo_u32 v2, v0, s24
	v_mul_lo_u32 v4, v0, s25
	;; [unrolled: 1-line block ×3, first 2 shown]
	s_cbranch_vccnz .LBB4_42
; %bb.41:
	v_mul_hi_u32 v3, s13, v1
	v_add_u32_e32 v3, v1, v3
	v_lshrrev_b32_e32 v3, s14, v3
	v_mul_lo_u32 v3, v3, s12
	v_sub_u32_e32 v1, v1, v3
	v_mad_u64_u32 v[2:3], s[36:37], v1, s27, v[2:3]
	v_mad_u64_u32 v[4:5], s[36:37], v1, s6, v[4:5]
	;; [unrolled: 1-line block ×3, first 2 shown]
.LBB4_42:
	s_andn2_b64 vcc, exec, s[4:5]
	s_cbranch_vccnz .LBB4_45
; %bb.43:
	s_waitcnt lgkmcnt(0)
	global_load_ushort v8, v2, s[20:21]
	v_mov_b32_e32 v3, s21
	v_add_co_u32_e32 v1, vcc, s20, v2
	v_addc_co_u32_e32 v2, vcc, 0, v3, vcc
	v_mov_b32_e32 v5, s23
	v_add_co_u32_e32 v3, vcc, s22, v4
	v_addc_co_u32_e32 v4, vcc, 0, v5, vcc
	s_ashr_i32 s19, s18, 31
	s_ashr_i32 s39, s17, 31
	s_mov_b32 s38, s17
	v_mov_b32_e32 v6, s3
	v_add_co_u32_e32 v5, vcc, s2, v0
	s_lshl_b64 s[36:37], s[18:19], 1
	s_lshl_b64 s[38:39], s[38:39], 1
	v_addc_co_u32_e32 v6, vcc, 0, v6, vcc
	v_mov_b32_e32 v0, s37
	v_mov_b32_e32 v9, s39
	s_mov_b32 s8, s16
.LBB4_44:                               ; =>This Inner Loop Header: Depth=1
	global_load_ushort v10, v[3:4], off
	global_load_ushort v11, v[5:6], off
	v_add_co_u32_e32 v5, vcc, s36, v5
	v_addc_co_u32_e32 v6, vcc, v6, v0, vcc
	s_add_i32 s8, s8, -1
	v_add_co_u32_e32 v3, vcc, s38, v3
	v_addc_co_u32_e32 v4, vcc, v4, v9, vcc
	s_cmp_lg_u32 s8, 0
	s_waitcnt vmcnt(0)
	v_mad_legacy_u16 v8, v11, v10, v8
	global_store_short v[1:2], v8, off
	s_cbranch_scc1 .LBB4_44
.LBB4_45:
	v_add_u32_e32 v7, 0x100, v7
	s_or_b64 exec, exec, s[34:35]
	v_cmp_gt_i32_e32 vcc, s41, v7
	s_and_saveexec_b64 s[34:35], vcc
	s_cbranch_execz .LBB4_59
.LBB4_46:
	s_and_b64 vcc, exec, s[0:1]
	s_cbranch_vccnz .LBB4_53
; %bb.47:
	v_mov_b32_e32 v2, 0
	s_andn2_b64 vcc, exec, s[30:31]
	v_mov_b32_e32 v4, 0
	v_mov_b32_e32 v0, 0
	s_cbranch_vccnz .LBB4_52
; %bb.48:
	s_add_i32 s0, s15, 1
	s_and_b32 s8, s0, 30
	s_add_u32 s0, s33, 0xffffffe8
	s_addc_u32 s1, s40, -1
	v_mov_b32_e32 v0, 0
	v_mov_b32_e32 v4, 0
	v_mov_b32_e32 v2, 0
	v_mov_b32_e32 v1, v7
.LBB4_49:                               ; =>This Inner Loop Header: Depth=1
	s_load_dwordx4 s[36:39], s[0:1], 0x1c
	s_load_dwordx2 s[30:31], s[0:1], 0x2c
	s_load_dwordx2 s[34:35], s[0:1], 0xec
	s_load_dwordx4 s[40:43], s[0:1], 0xdc
	s_add_u32 s0, s0, 24
	s_waitcnt lgkmcnt(0)
	v_mul_hi_u32 v3, s37, v1
	s_addc_u32 s1, s1, 0
	s_add_i32 s8, s8, -2
	s_cmp_eq_u32 s8, 0
	v_add_u32_e32 v3, v1, v3
	v_lshrrev_b32_e32 v3, s38, v3
	v_mul_lo_u32 v5, v3, s36
	v_mul_hi_u32 v6, s30, v3
	v_sub_u32_e32 v5, v1, v5
	v_add_u32_e32 v1, v3, v6
	v_lshrrev_b32_e32 v1, s31, v1
	v_mul_lo_u32 v9, v1, s39
	v_mul_lo_u32 v6, v5, s40
	;; [unrolled: 1-line block ×4, first 2 shown]
	v_sub_u32_e32 v3, v3, v9
	v_mul_lo_u32 v9, v3, s43
	v_mul_lo_u32 v10, v3, s34
	;; [unrolled: 1-line block ×3, first 2 shown]
	v_add3_u32 v2, v6, v2, v9
	v_add3_u32 v4, v8, v4, v10
	;; [unrolled: 1-line block ×3, first 2 shown]
	s_cbranch_scc0 .LBB4_49
; %bb.50:
	s_bitcmp1_b32 s15, 0
	s_cselect_b64 s[30:31], -1, 0
	s_and_b64 vcc, exec, s[30:31]
	s_cbranch_vccnz .LBB4_52
; %bb.51:
	s_load_dwordx2 s[30:31], s[0:1], 0x1c
	s_load_dword s8, s[0:1], 0x24
	s_load_dwordx2 s[34:35], s[0:1], 0xdc
	s_waitcnt lgkmcnt(0)
	v_mul_hi_u32 v3, s31, v1
	v_add_u32_e32 v3, v1, v3
	v_lshrrev_b32_e32 v3, s8, v3
	v_mul_lo_u32 v3, v3, s30
	s_load_dword s8, s[0:1], 0xe4
	v_sub_u32_e32 v1, v1, v3
	v_mad_u64_u32 v[2:3], s[0:1], v1, s34, v[2:3]
	v_mad_u64_u32 v[4:5], s[0:1], v1, s35, v[4:5]
	s_waitcnt lgkmcnt(0)
	v_mad_u64_u32 v[0:1], s[0:1], v1, s8, v[0:1]
.LBB4_52:
	s_cbranch_execz .LBB4_54
	s_branch .LBB4_56
.LBB4_53:
                                        ; implicit-def: $vgpr2
                                        ; implicit-def: $vgpr4
                                        ; implicit-def: $vgpr0
.LBB4_54:
	v_mul_hi_u32 v0, s10, v7
	s_andn2_b64 vcc, exec, s[28:29]
	v_add_u32_e32 v0, v7, v0
	v_lshrrev_b32_e32 v1, s11, v0
	v_mul_lo_u32 v0, v1, s9
	v_sub_u32_e32 v0, v7, v0
	v_mul_lo_u32 v2, v0, s24
	v_mul_lo_u32 v4, v0, s25
	v_mul_lo_u32 v0, v0, s26
	s_cbranch_vccnz .LBB4_56
; %bb.55:
	v_mul_hi_u32 v3, s13, v1
	v_add_u32_e32 v3, v1, v3
	v_lshrrev_b32_e32 v3, s14, v3
	v_mul_lo_u32 v3, v3, s12
	v_sub_u32_e32 v1, v1, v3
	v_mad_u64_u32 v[2:3], s[0:1], v1, s27, v[2:3]
	v_mad_u64_u32 v[4:5], s[0:1], v1, s6, v[4:5]
	;; [unrolled: 1-line block ×3, first 2 shown]
.LBB4_56:
	s_andn2_b64 vcc, exec, s[4:5]
	s_cbranch_vccnz .LBB4_59
; %bb.57:
	s_waitcnt lgkmcnt(0)
	global_load_ushort v7, v2, s[20:21]
	v_mov_b32_e32 v3, s21
	v_add_co_u32_e32 v1, vcc, s20, v2
	v_addc_co_u32_e32 v2, vcc, 0, v3, vcc
	v_mov_b32_e32 v5, s23
	v_add_co_u32_e32 v3, vcc, s22, v4
	v_addc_co_u32_e32 v4, vcc, 0, v5, vcc
	v_mov_b32_e32 v6, s3
	v_add_co_u32_e32 v5, vcc, s2, v0
	s_ashr_i32 s19, s18, 31
	s_ashr_i32 s3, s17, 31
	s_mov_b32 s2, s17
	s_lshl_b64 s[0:1], s[18:19], 1
	s_lshl_b64 s[2:3], s[2:3], 1
	v_addc_co_u32_e32 v6, vcc, 0, v6, vcc
	v_mov_b32_e32 v0, s1
	v_mov_b32_e32 v8, s3
.LBB4_58:                               ; =>This Inner Loop Header: Depth=1
	global_load_ushort v9, v[3:4], off
	global_load_ushort v10, v[5:6], off
	v_add_co_u32_e32 v5, vcc, s0, v5
	v_addc_co_u32_e32 v6, vcc, v6, v0, vcc
	s_add_i32 s16, s16, -1
	v_add_co_u32_e32 v3, vcc, s2, v3
	v_addc_co_u32_e32 v4, vcc, v4, v8, vcc
	s_cmp_lg_u32 s16, 0
	s_waitcnt vmcnt(0)
	v_mad_legacy_u16 v7, v10, v9, v7
	global_store_short v[1:2], v7, off
	s_cbranch_scc1 .LBB4_58
.LBB4_59:
	s_endpgm
	.section	.rodata,"a",@progbits
	.p2align	6, 0x0
	.amdhsa_kernel _ZN2at6native12_GLOBAL__N_116_elemwise_kernelILi256ELi4EZNS1_43_compute_linear_combination_internal_kernelIsEEvRNS_14TensorIteratorEiiiEUliE_EEviT1_
		.amdhsa_group_segment_fixed_size 0
		.amdhsa_private_segment_fixed_size 0
		.amdhsa_kernarg_size 440
		.amdhsa_user_sgpr_count 6
		.amdhsa_user_sgpr_private_segment_buffer 1
		.amdhsa_user_sgpr_dispatch_ptr 0
		.amdhsa_user_sgpr_queue_ptr 0
		.amdhsa_user_sgpr_kernarg_segment_ptr 1
		.amdhsa_user_sgpr_dispatch_id 0
		.amdhsa_user_sgpr_flat_scratch_init 0
		.amdhsa_user_sgpr_private_segment_size 0
		.amdhsa_uses_dynamic_stack 0
		.amdhsa_system_sgpr_private_segment_wavefront_offset 0
		.amdhsa_system_sgpr_workgroup_id_x 1
		.amdhsa_system_sgpr_workgroup_id_y 0
		.amdhsa_system_sgpr_workgroup_id_z 0
		.amdhsa_system_sgpr_workgroup_info 0
		.amdhsa_system_vgpr_workitem_id 0
		.amdhsa_next_free_vgpr 12
		.amdhsa_next_free_sgpr 52
		.amdhsa_reserve_vcc 1
		.amdhsa_reserve_flat_scratch 0
		.amdhsa_float_round_mode_32 0
		.amdhsa_float_round_mode_16_64 0
		.amdhsa_float_denorm_mode_32 3
		.amdhsa_float_denorm_mode_16_64 3
		.amdhsa_dx10_clamp 1
		.amdhsa_ieee_mode 1
		.amdhsa_fp16_overflow 0
		.amdhsa_exception_fp_ieee_invalid_op 0
		.amdhsa_exception_fp_denorm_src 0
		.amdhsa_exception_fp_ieee_div_zero 0
		.amdhsa_exception_fp_ieee_overflow 0
		.amdhsa_exception_fp_ieee_underflow 0
		.amdhsa_exception_fp_ieee_inexact 0
		.amdhsa_exception_int_div_zero 0
	.end_amdhsa_kernel
	.section	.text._ZN2at6native12_GLOBAL__N_116_elemwise_kernelILi256ELi4EZNS1_43_compute_linear_combination_internal_kernelIsEEvRNS_14TensorIteratorEiiiEUliE_EEviT1_,"axG",@progbits,_ZN2at6native12_GLOBAL__N_116_elemwise_kernelILi256ELi4EZNS1_43_compute_linear_combination_internal_kernelIsEEvRNS_14TensorIteratorEiiiEUliE_EEviT1_,comdat
.Lfunc_end4:
	.size	_ZN2at6native12_GLOBAL__N_116_elemwise_kernelILi256ELi4EZNS1_43_compute_linear_combination_internal_kernelIsEEvRNS_14TensorIteratorEiiiEUliE_EEviT1_, .Lfunc_end4-_ZN2at6native12_GLOBAL__N_116_elemwise_kernelILi256ELi4EZNS1_43_compute_linear_combination_internal_kernelIsEEvRNS_14TensorIteratorEiiiEUliE_EEviT1_
                                        ; -- End function
	.set _ZN2at6native12_GLOBAL__N_116_elemwise_kernelILi256ELi4EZNS1_43_compute_linear_combination_internal_kernelIsEEvRNS_14TensorIteratorEiiiEUliE_EEviT1_.num_vgpr, 12
	.set _ZN2at6native12_GLOBAL__N_116_elemwise_kernelILi256ELi4EZNS1_43_compute_linear_combination_internal_kernelIsEEvRNS_14TensorIteratorEiiiEUliE_EEviT1_.num_agpr, 0
	.set _ZN2at6native12_GLOBAL__N_116_elemwise_kernelILi256ELi4EZNS1_43_compute_linear_combination_internal_kernelIsEEvRNS_14TensorIteratorEiiiEUliE_EEviT1_.numbered_sgpr, 52
	.set _ZN2at6native12_GLOBAL__N_116_elemwise_kernelILi256ELi4EZNS1_43_compute_linear_combination_internal_kernelIsEEvRNS_14TensorIteratorEiiiEUliE_EEviT1_.num_named_barrier, 0
	.set _ZN2at6native12_GLOBAL__N_116_elemwise_kernelILi256ELi4EZNS1_43_compute_linear_combination_internal_kernelIsEEvRNS_14TensorIteratorEiiiEUliE_EEviT1_.private_seg_size, 0
	.set _ZN2at6native12_GLOBAL__N_116_elemwise_kernelILi256ELi4EZNS1_43_compute_linear_combination_internal_kernelIsEEvRNS_14TensorIteratorEiiiEUliE_EEviT1_.uses_vcc, 1
	.set _ZN2at6native12_GLOBAL__N_116_elemwise_kernelILi256ELi4EZNS1_43_compute_linear_combination_internal_kernelIsEEvRNS_14TensorIteratorEiiiEUliE_EEviT1_.uses_flat_scratch, 0
	.set _ZN2at6native12_GLOBAL__N_116_elemwise_kernelILi256ELi4EZNS1_43_compute_linear_combination_internal_kernelIsEEvRNS_14TensorIteratorEiiiEUliE_EEviT1_.has_dyn_sized_stack, 0
	.set _ZN2at6native12_GLOBAL__N_116_elemwise_kernelILi256ELi4EZNS1_43_compute_linear_combination_internal_kernelIsEEvRNS_14TensorIteratorEiiiEUliE_EEviT1_.has_recursion, 0
	.set _ZN2at6native12_GLOBAL__N_116_elemwise_kernelILi256ELi4EZNS1_43_compute_linear_combination_internal_kernelIsEEvRNS_14TensorIteratorEiiiEUliE_EEviT1_.has_indirect_call, 0
	.section	.AMDGPU.csdata,"",@progbits
; Kernel info:
; codeLenInByte = 2792
; TotalNumSgprs: 56
; NumVgprs: 12
; ScratchSize: 0
; MemoryBound: 0
; FloatMode: 240
; IeeeMode: 1
; LDSByteSize: 0 bytes/workgroup (compile time only)
; SGPRBlocks: 6
; VGPRBlocks: 2
; NumSGPRsForWavesPerEU: 56
; NumVGPRsForWavesPerEU: 12
; Occupancy: 10
; WaveLimiterHint : 1
; COMPUTE_PGM_RSRC2:SCRATCH_EN: 0
; COMPUTE_PGM_RSRC2:USER_SGPR: 6
; COMPUTE_PGM_RSRC2:TRAP_HANDLER: 0
; COMPUTE_PGM_RSRC2:TGID_X_EN: 1
; COMPUTE_PGM_RSRC2:TGID_Y_EN: 0
; COMPUTE_PGM_RSRC2:TGID_Z_EN: 0
; COMPUTE_PGM_RSRC2:TIDIG_COMP_CNT: 0
	.section	.text._ZN2at6native12_GLOBAL__N_116_elemwise_kernelILi256ELi4EZNS1_43_compute_linear_combination_internal_kernelIdEEvRNS_14TensorIteratorEiiiEUliE_EEviT1_,"axG",@progbits,_ZN2at6native12_GLOBAL__N_116_elemwise_kernelILi256ELi4EZNS1_43_compute_linear_combination_internal_kernelIdEEvRNS_14TensorIteratorEiiiEUliE_EEviT1_,comdat
	.globl	_ZN2at6native12_GLOBAL__N_116_elemwise_kernelILi256ELi4EZNS1_43_compute_linear_combination_internal_kernelIdEEvRNS_14TensorIteratorEiiiEUliE_EEviT1_ ; -- Begin function _ZN2at6native12_GLOBAL__N_116_elemwise_kernelILi256ELi4EZNS1_43_compute_linear_combination_internal_kernelIdEEvRNS_14TensorIteratorEiiiEUliE_EEviT1_
	.p2align	8
	.type	_ZN2at6native12_GLOBAL__N_116_elemwise_kernelILi256ELi4EZNS1_43_compute_linear_combination_internal_kernelIdEEvRNS_14TensorIteratorEiiiEUliE_EEviT1_,@function
_ZN2at6native12_GLOBAL__N_116_elemwise_kernelILi256ELi4EZNS1_43_compute_linear_combination_internal_kernelIdEEvRNS_14TensorIteratorEiiiEUliE_EEviT1_: ; @_ZN2at6native12_GLOBAL__N_116_elemwise_kernelILi256ELi4EZNS1_43_compute_linear_combination_internal_kernelIdEEvRNS_14TensorIteratorEiiiEUliE_EEviT1_
; %bb.0:
	s_load_dword s41, s[4:5], 0x0
	s_load_dwordx8 s[8:15], s[4:5], 0x8
	v_lshl_or_b32 v9, s6, 10, v0
	s_load_dwordx4 s[24:27], s[4:5], 0xcc
	s_load_dwordx2 s[6:7], s[4:5], 0xdc
	s_load_dwordx4 s[16:19], s[4:5], 0x1a8
	s_add_u32 s33, s4, 8
	s_addc_u32 s40, s5, 0
	s_waitcnt lgkmcnt(0)
	v_sub_co_u32_e64 v0, s[0:1], s8, 1
	s_xor_b64 s[30:31], s[0:1], -1
	v_readfirstlane_b32 s0, v0
	s_load_dwordx2 s[2:3], s[4:5], 0x1a0
	s_load_dwordx4 s[20:23], s[4:5], 0x190
	s_min_u32 s15, s0, 15
	s_cmp_gt_u32 s8, 1
	v_cmp_lt_u32_e64 s[0:1], 1, v0
	s_cselect_b64 s[28:29], -1, 0
	s_cmp_gt_i32 s16, 0
	v_cndmask_b32_e64 v0, 0, 1, s[0:1]
	s_mov_b64 s[36:37], -1
	s_cselect_b64 s[4:5], -1, 0
	v_cmp_gt_i32_e32 vcc, s41, v9
	v_cmp_ne_u32_e64 s[0:1], 1, v0
	s_and_saveexec_b64 s[34:35], vcc
	s_cbranch_execnz .LBB5_4
; %bb.1:
	s_or_b64 exec, exec, s[34:35]
	v_cmp_gt_i32_e32 vcc, s41, v9
	s_and_saveexec_b64 s[34:35], vcc
	s_cbranch_execnz .LBB5_18
.LBB5_2:
	s_or_b64 exec, exec, s[34:35]
	v_cmp_gt_i32_e32 vcc, s41, v9
	s_and_saveexec_b64 s[34:35], vcc
	s_cbranch_execnz .LBB5_32
.LBB5_3:
	s_or_b64 exec, exec, s[34:35]
	v_cmp_gt_i32_e32 vcc, s41, v9
	s_and_saveexec_b64 s[34:35], vcc
	s_cbranch_execnz .LBB5_46
	s_branch .LBB5_59
.LBB5_4:
	s_and_b64 vcc, exec, s[0:1]
                                        ; implicit-def: $vgpr2
                                        ; implicit-def: $vgpr4
                                        ; implicit-def: $vgpr0
	s_cbranch_vccnz .LBB5_11
; %bb.5:
	v_mov_b32_e32 v2, 0
	s_andn2_b64 vcc, exec, s[30:31]
	v_mov_b32_e32 v4, 0
	v_mov_b32_e32 v0, 0
	s_cbranch_vccnz .LBB5_10
; %bb.6:
	s_add_i32 s8, s15, 1
	s_and_b32 s8, s8, 30
	s_add_u32 s36, s33, 0xffffffe8
	s_addc_u32 s37, s40, -1
	v_mov_b32_e32 v0, 0
	v_mov_b32_e32 v4, 0
	;; [unrolled: 1-line block ×4, first 2 shown]
.LBB5_7:                                ; =>This Inner Loop Header: Depth=1
	s_load_dwordx4 s[44:47], s[36:37], 0x1c
	s_load_dwordx2 s[38:39], s[36:37], 0x2c
	s_load_dwordx2 s[42:43], s[36:37], 0xec
	s_load_dwordx4 s[48:51], s[36:37], 0xdc
	s_add_u32 s36, s36, 24
	s_waitcnt lgkmcnt(0)
	v_mul_hi_u32 v3, s45, v1
	s_addc_u32 s37, s37, 0
	s_add_i32 s8, s8, -2
	s_cmp_lg_u32 s8, 0
	v_add_u32_e32 v3, v1, v3
	v_lshrrev_b32_e32 v3, s46, v3
	v_mul_lo_u32 v5, v3, s44
	v_mul_hi_u32 v6, s38, v3
	v_sub_u32_e32 v5, v1, v5
	v_add_u32_e32 v1, v3, v6
	v_lshrrev_b32_e32 v1, s39, v1
	v_mul_lo_u32 v8, v1, s47
	v_mul_lo_u32 v6, v5, s48
	;; [unrolled: 1-line block ×4, first 2 shown]
	v_sub_u32_e32 v3, v3, v8
	v_mul_lo_u32 v8, v3, s51
	v_mul_lo_u32 v10, v3, s42
	;; [unrolled: 1-line block ×3, first 2 shown]
	v_add3_u32 v2, v6, v2, v8
	v_add3_u32 v4, v7, v4, v10
	;; [unrolled: 1-line block ×3, first 2 shown]
	s_cbranch_scc1 .LBB5_7
; %bb.8:
	s_bitcmp1_b32 s15, 0
	s_cselect_b64 s[38:39], -1, 0
	s_and_b64 vcc, exec, s[38:39]
	s_cbranch_vccnz .LBB5_10
; %bb.9:
	s_load_dwordx2 s[38:39], s[36:37], 0x1c
	s_load_dword s8, s[36:37], 0x24
	s_load_dwordx2 s[42:43], s[36:37], 0xdc
	s_waitcnt lgkmcnt(0)
	v_mul_hi_u32 v3, s39, v1
	v_add_u32_e32 v3, v1, v3
	v_lshrrev_b32_e32 v3, s8, v3
	v_mul_lo_u32 v3, v3, s38
	s_load_dword s8, s[36:37], 0xe4
	v_sub_u32_e32 v1, v1, v3
	v_mad_u64_u32 v[2:3], s[36:37], v1, s42, v[2:3]
	v_mad_u64_u32 v[4:5], s[36:37], v1, s43, v[4:5]
	s_waitcnt lgkmcnt(0)
	v_mad_u64_u32 v[0:1], s[36:37], v1, s8, v[0:1]
.LBB5_10:
	s_mov_b64 s[36:37], 0
.LBB5_11:
	s_andn2_b64 vcc, exec, s[36:37]
	s_cbranch_vccnz .LBB5_14
; %bb.12:
	v_mul_hi_u32 v0, s10, v9
	s_andn2_b64 vcc, exec, s[28:29]
	v_add_u32_e32 v0, v9, v0
	v_lshrrev_b32_e32 v1, s11, v0
	v_mul_lo_u32 v0, v1, s9
	v_sub_u32_e32 v0, v9, v0
	v_mul_lo_u32 v2, v0, s24
	v_mul_lo_u32 v4, v0, s25
	;; [unrolled: 1-line block ×3, first 2 shown]
	s_cbranch_vccnz .LBB5_14
; %bb.13:
	v_mul_hi_u32 v3, s13, v1
	v_add_u32_e32 v3, v1, v3
	v_lshrrev_b32_e32 v3, s14, v3
	v_mul_lo_u32 v3, v3, s12
	v_sub_u32_e32 v1, v1, v3
	v_mad_u64_u32 v[2:3], s[36:37], v1, s27, v[2:3]
	v_mad_u64_u32 v[4:5], s[36:37], v1, s6, v[4:5]
	;; [unrolled: 1-line block ×3, first 2 shown]
.LBB5_14:
	s_andn2_b64 vcc, exec, s[4:5]
	s_cbranch_vccnz .LBB5_17
; %bb.15:
	s_waitcnt lgkmcnt(0)
	global_load_dwordx2 v[5:6], v2, s[20:21]
	v_mov_b32_e32 v3, s21
	v_add_co_u32_e32 v1, vcc, s20, v2
	v_addc_co_u32_e32 v2, vcc, 0, v3, vcc
	v_mov_b32_e32 v7, s23
	v_add_co_u32_e32 v3, vcc, s22, v4
	v_addc_co_u32_e32 v4, vcc, 0, v7, vcc
	s_ashr_i32 s19, s18, 31
	s_ashr_i32 s39, s17, 31
	s_mov_b32 s38, s17
	v_mov_b32_e32 v8, s3
	v_add_co_u32_e32 v7, vcc, s2, v0
	s_lshl_b64 s[36:37], s[18:19], 3
	s_lshl_b64 s[38:39], s[38:39], 3
	v_addc_co_u32_e32 v8, vcc, 0, v8, vcc
	v_mov_b32_e32 v0, s37
	v_mov_b32_e32 v10, s39
	s_mov_b32 s8, s16
.LBB5_16:                               ; =>This Inner Loop Header: Depth=1
	global_load_dwordx2 v[11:12], v[3:4], off
	global_load_dwordx2 v[13:14], v[7:8], off
	v_add_co_u32_e32 v7, vcc, s36, v7
	v_addc_co_u32_e32 v8, vcc, v8, v0, vcc
	s_add_i32 s8, s8, -1
	v_add_co_u32_e32 v3, vcc, s38, v3
	v_addc_co_u32_e32 v4, vcc, v4, v10, vcc
	s_cmp_lg_u32 s8, 0
	s_waitcnt vmcnt(0)
	v_fma_f64 v[5:6], v[11:12], v[13:14], v[5:6]
	global_store_dwordx2 v[1:2], v[5:6], off
	s_cbranch_scc1 .LBB5_16
.LBB5_17:
	v_add_u32_e32 v9, 0x100, v9
	s_or_b64 exec, exec, s[34:35]
	v_cmp_gt_i32_e32 vcc, s41, v9
	s_and_saveexec_b64 s[34:35], vcc
	s_cbranch_execz .LBB5_2
.LBB5_18:
	s_and_b64 vcc, exec, s[0:1]
	s_cbranch_vccnz .LBB5_25
; %bb.19:
	v_mov_b32_e32 v2, 0
	s_andn2_b64 vcc, exec, s[30:31]
	v_mov_b32_e32 v4, 0
	v_mov_b32_e32 v0, 0
	s_cbranch_vccnz .LBB5_24
; %bb.20:
	s_add_i32 s8, s15, 1
	s_and_b32 s8, s8, 30
	s_add_u32 s36, s33, 0xffffffe8
	s_addc_u32 s37, s40, -1
	v_mov_b32_e32 v0, 0
	v_mov_b32_e32 v4, 0
	;; [unrolled: 1-line block ×4, first 2 shown]
.LBB5_21:                               ; =>This Inner Loop Header: Depth=1
	s_load_dwordx4 s[44:47], s[36:37], 0x1c
	s_load_dwordx2 s[38:39], s[36:37], 0x2c
	s_load_dwordx2 s[42:43], s[36:37], 0xec
	s_load_dwordx4 s[48:51], s[36:37], 0xdc
	s_add_u32 s36, s36, 24
	s_waitcnt lgkmcnt(0)
	v_mul_hi_u32 v3, s45, v1
	s_addc_u32 s37, s37, 0
	s_add_i32 s8, s8, -2
	s_cmp_eq_u32 s8, 0
	v_add_u32_e32 v3, v1, v3
	v_lshrrev_b32_e32 v3, s46, v3
	v_mul_lo_u32 v5, v3, s44
	v_mul_hi_u32 v6, s38, v3
	v_sub_u32_e32 v5, v1, v5
	v_add_u32_e32 v1, v3, v6
	v_lshrrev_b32_e32 v1, s39, v1
	v_mul_lo_u32 v8, v1, s47
	v_mul_lo_u32 v6, v5, s48
	;; [unrolled: 1-line block ×4, first 2 shown]
	v_sub_u32_e32 v3, v3, v8
	v_mul_lo_u32 v8, v3, s51
	v_mul_lo_u32 v10, v3, s42
	;; [unrolled: 1-line block ×3, first 2 shown]
	v_add3_u32 v2, v6, v2, v8
	v_add3_u32 v4, v7, v4, v10
	;; [unrolled: 1-line block ×3, first 2 shown]
	s_cbranch_scc0 .LBB5_21
; %bb.22:
	s_bitcmp1_b32 s15, 0
	s_cselect_b64 s[38:39], -1, 0
	s_and_b64 vcc, exec, s[38:39]
	s_cbranch_vccnz .LBB5_24
; %bb.23:
	s_load_dwordx2 s[38:39], s[36:37], 0x1c
	s_load_dword s8, s[36:37], 0x24
	s_load_dwordx2 s[42:43], s[36:37], 0xdc
	s_waitcnt lgkmcnt(0)
	v_mul_hi_u32 v3, s39, v1
	v_add_u32_e32 v3, v1, v3
	v_lshrrev_b32_e32 v3, s8, v3
	v_mul_lo_u32 v3, v3, s38
	s_load_dword s8, s[36:37], 0xe4
	v_sub_u32_e32 v1, v1, v3
	v_mad_u64_u32 v[2:3], s[36:37], v1, s42, v[2:3]
	v_mad_u64_u32 v[4:5], s[36:37], v1, s43, v[4:5]
	s_waitcnt lgkmcnt(0)
	v_mad_u64_u32 v[0:1], s[36:37], v1, s8, v[0:1]
.LBB5_24:
	s_cbranch_execz .LBB5_26
	s_branch .LBB5_28
.LBB5_25:
                                        ; implicit-def: $vgpr2
                                        ; implicit-def: $vgpr4
                                        ; implicit-def: $vgpr0
.LBB5_26:
	v_mul_hi_u32 v0, s10, v9
	s_andn2_b64 vcc, exec, s[28:29]
	v_add_u32_e32 v0, v9, v0
	v_lshrrev_b32_e32 v1, s11, v0
	v_mul_lo_u32 v0, v1, s9
	v_sub_u32_e32 v0, v9, v0
	v_mul_lo_u32 v2, v0, s24
	v_mul_lo_u32 v4, v0, s25
	;; [unrolled: 1-line block ×3, first 2 shown]
	s_cbranch_vccnz .LBB5_28
; %bb.27:
	v_mul_hi_u32 v3, s13, v1
	v_add_u32_e32 v3, v1, v3
	v_lshrrev_b32_e32 v3, s14, v3
	v_mul_lo_u32 v3, v3, s12
	v_sub_u32_e32 v1, v1, v3
	v_mad_u64_u32 v[2:3], s[36:37], v1, s27, v[2:3]
	v_mad_u64_u32 v[4:5], s[36:37], v1, s6, v[4:5]
	;; [unrolled: 1-line block ×3, first 2 shown]
.LBB5_28:
	s_andn2_b64 vcc, exec, s[4:5]
	s_cbranch_vccnz .LBB5_31
; %bb.29:
	s_waitcnt lgkmcnt(0)
	global_load_dwordx2 v[5:6], v2, s[20:21]
	v_mov_b32_e32 v3, s21
	v_add_co_u32_e32 v1, vcc, s20, v2
	v_addc_co_u32_e32 v2, vcc, 0, v3, vcc
	v_mov_b32_e32 v7, s23
	v_add_co_u32_e32 v3, vcc, s22, v4
	v_addc_co_u32_e32 v4, vcc, 0, v7, vcc
	s_ashr_i32 s19, s18, 31
	s_ashr_i32 s39, s17, 31
	s_mov_b32 s38, s17
	v_mov_b32_e32 v8, s3
	v_add_co_u32_e32 v7, vcc, s2, v0
	s_lshl_b64 s[36:37], s[18:19], 3
	s_lshl_b64 s[38:39], s[38:39], 3
	v_addc_co_u32_e32 v8, vcc, 0, v8, vcc
	v_mov_b32_e32 v0, s37
	v_mov_b32_e32 v10, s39
	s_mov_b32 s8, s16
.LBB5_30:                               ; =>This Inner Loop Header: Depth=1
	global_load_dwordx2 v[11:12], v[3:4], off
	global_load_dwordx2 v[13:14], v[7:8], off
	v_add_co_u32_e32 v7, vcc, s36, v7
	v_addc_co_u32_e32 v8, vcc, v8, v0, vcc
	s_add_i32 s8, s8, -1
	v_add_co_u32_e32 v3, vcc, s38, v3
	v_addc_co_u32_e32 v4, vcc, v4, v10, vcc
	s_cmp_lg_u32 s8, 0
	s_waitcnt vmcnt(0)
	v_fma_f64 v[5:6], v[11:12], v[13:14], v[5:6]
	global_store_dwordx2 v[1:2], v[5:6], off
	s_cbranch_scc1 .LBB5_30
.LBB5_31:
	v_add_u32_e32 v9, 0x100, v9
	s_or_b64 exec, exec, s[34:35]
	v_cmp_gt_i32_e32 vcc, s41, v9
	s_and_saveexec_b64 s[34:35], vcc
	s_cbranch_execz .LBB5_3
.LBB5_32:
	s_and_b64 vcc, exec, s[0:1]
	s_cbranch_vccnz .LBB5_39
; %bb.33:
	v_mov_b32_e32 v2, 0
	s_andn2_b64 vcc, exec, s[30:31]
	v_mov_b32_e32 v4, 0
	v_mov_b32_e32 v0, 0
	s_cbranch_vccnz .LBB5_38
; %bb.34:
	s_add_i32 s8, s15, 1
	s_and_b32 s8, s8, 30
	s_add_u32 s36, s33, 0xffffffe8
	s_addc_u32 s37, s40, -1
	v_mov_b32_e32 v0, 0
	v_mov_b32_e32 v4, 0
	;; [unrolled: 1-line block ×4, first 2 shown]
.LBB5_35:                               ; =>This Inner Loop Header: Depth=1
	s_load_dwordx4 s[44:47], s[36:37], 0x1c
	s_load_dwordx2 s[38:39], s[36:37], 0x2c
	s_load_dwordx2 s[42:43], s[36:37], 0xec
	s_load_dwordx4 s[48:51], s[36:37], 0xdc
	s_add_u32 s36, s36, 24
	s_waitcnt lgkmcnt(0)
	v_mul_hi_u32 v3, s45, v1
	s_addc_u32 s37, s37, 0
	s_add_i32 s8, s8, -2
	s_cmp_eq_u32 s8, 0
	v_add_u32_e32 v3, v1, v3
	v_lshrrev_b32_e32 v3, s46, v3
	v_mul_lo_u32 v5, v3, s44
	v_mul_hi_u32 v6, s38, v3
	v_sub_u32_e32 v5, v1, v5
	v_add_u32_e32 v1, v3, v6
	v_lshrrev_b32_e32 v1, s39, v1
	v_mul_lo_u32 v8, v1, s47
	v_mul_lo_u32 v6, v5, s48
	;; [unrolled: 1-line block ×4, first 2 shown]
	v_sub_u32_e32 v3, v3, v8
	v_mul_lo_u32 v8, v3, s51
	v_mul_lo_u32 v10, v3, s42
	;; [unrolled: 1-line block ×3, first 2 shown]
	v_add3_u32 v2, v6, v2, v8
	v_add3_u32 v4, v7, v4, v10
	;; [unrolled: 1-line block ×3, first 2 shown]
	s_cbranch_scc0 .LBB5_35
; %bb.36:
	s_bitcmp1_b32 s15, 0
	s_cselect_b64 s[38:39], -1, 0
	s_and_b64 vcc, exec, s[38:39]
	s_cbranch_vccnz .LBB5_38
; %bb.37:
	s_load_dwordx2 s[38:39], s[36:37], 0x1c
	s_load_dword s8, s[36:37], 0x24
	s_load_dwordx2 s[42:43], s[36:37], 0xdc
	s_waitcnt lgkmcnt(0)
	v_mul_hi_u32 v3, s39, v1
	v_add_u32_e32 v3, v1, v3
	v_lshrrev_b32_e32 v3, s8, v3
	v_mul_lo_u32 v3, v3, s38
	s_load_dword s8, s[36:37], 0xe4
	v_sub_u32_e32 v1, v1, v3
	v_mad_u64_u32 v[2:3], s[36:37], v1, s42, v[2:3]
	v_mad_u64_u32 v[4:5], s[36:37], v1, s43, v[4:5]
	s_waitcnt lgkmcnt(0)
	v_mad_u64_u32 v[0:1], s[36:37], v1, s8, v[0:1]
.LBB5_38:
	s_cbranch_execz .LBB5_40
	s_branch .LBB5_42
.LBB5_39:
                                        ; implicit-def: $vgpr2
                                        ; implicit-def: $vgpr4
                                        ; implicit-def: $vgpr0
.LBB5_40:
	v_mul_hi_u32 v0, s10, v9
	s_andn2_b64 vcc, exec, s[28:29]
	v_add_u32_e32 v0, v9, v0
	v_lshrrev_b32_e32 v1, s11, v0
	v_mul_lo_u32 v0, v1, s9
	v_sub_u32_e32 v0, v9, v0
	v_mul_lo_u32 v2, v0, s24
	v_mul_lo_u32 v4, v0, s25
	;; [unrolled: 1-line block ×3, first 2 shown]
	s_cbranch_vccnz .LBB5_42
; %bb.41:
	v_mul_hi_u32 v3, s13, v1
	v_add_u32_e32 v3, v1, v3
	v_lshrrev_b32_e32 v3, s14, v3
	v_mul_lo_u32 v3, v3, s12
	v_sub_u32_e32 v1, v1, v3
	v_mad_u64_u32 v[2:3], s[36:37], v1, s27, v[2:3]
	v_mad_u64_u32 v[4:5], s[36:37], v1, s6, v[4:5]
	;; [unrolled: 1-line block ×3, first 2 shown]
.LBB5_42:
	s_andn2_b64 vcc, exec, s[4:5]
	s_cbranch_vccnz .LBB5_45
; %bb.43:
	s_waitcnt lgkmcnt(0)
	global_load_dwordx2 v[5:6], v2, s[20:21]
	v_mov_b32_e32 v3, s21
	v_add_co_u32_e32 v1, vcc, s20, v2
	v_addc_co_u32_e32 v2, vcc, 0, v3, vcc
	v_mov_b32_e32 v7, s23
	v_add_co_u32_e32 v3, vcc, s22, v4
	v_addc_co_u32_e32 v4, vcc, 0, v7, vcc
	s_ashr_i32 s19, s18, 31
	s_ashr_i32 s39, s17, 31
	s_mov_b32 s38, s17
	v_mov_b32_e32 v8, s3
	v_add_co_u32_e32 v7, vcc, s2, v0
	s_lshl_b64 s[36:37], s[18:19], 3
	s_lshl_b64 s[38:39], s[38:39], 3
	v_addc_co_u32_e32 v8, vcc, 0, v8, vcc
	v_mov_b32_e32 v0, s37
	v_mov_b32_e32 v10, s39
	s_mov_b32 s8, s16
.LBB5_44:                               ; =>This Inner Loop Header: Depth=1
	global_load_dwordx2 v[11:12], v[3:4], off
	global_load_dwordx2 v[13:14], v[7:8], off
	v_add_co_u32_e32 v7, vcc, s36, v7
	v_addc_co_u32_e32 v8, vcc, v8, v0, vcc
	s_add_i32 s8, s8, -1
	v_add_co_u32_e32 v3, vcc, s38, v3
	v_addc_co_u32_e32 v4, vcc, v4, v10, vcc
	s_cmp_lg_u32 s8, 0
	s_waitcnt vmcnt(0)
	v_fma_f64 v[5:6], v[11:12], v[13:14], v[5:6]
	global_store_dwordx2 v[1:2], v[5:6], off
	s_cbranch_scc1 .LBB5_44
.LBB5_45:
	v_add_u32_e32 v9, 0x100, v9
	s_or_b64 exec, exec, s[34:35]
	v_cmp_gt_i32_e32 vcc, s41, v9
	s_and_saveexec_b64 s[34:35], vcc
	s_cbranch_execz .LBB5_59
.LBB5_46:
	s_and_b64 vcc, exec, s[0:1]
	s_cbranch_vccnz .LBB5_53
; %bb.47:
	v_mov_b32_e32 v2, 0
	s_andn2_b64 vcc, exec, s[30:31]
	v_mov_b32_e32 v4, 0
	v_mov_b32_e32 v0, 0
	s_cbranch_vccnz .LBB5_52
; %bb.48:
	s_add_i32 s0, s15, 1
	s_and_b32 s8, s0, 30
	s_add_u32 s0, s33, 0xffffffe8
	s_addc_u32 s1, s40, -1
	v_mov_b32_e32 v0, 0
	v_mov_b32_e32 v4, 0
	;; [unrolled: 1-line block ×4, first 2 shown]
.LBB5_49:                               ; =>This Inner Loop Header: Depth=1
	s_load_dwordx4 s[36:39], s[0:1], 0x1c
	s_load_dwordx2 s[30:31], s[0:1], 0x2c
	s_load_dwordx2 s[34:35], s[0:1], 0xec
	s_load_dwordx4 s[40:43], s[0:1], 0xdc
	s_add_u32 s0, s0, 24
	s_waitcnt lgkmcnt(0)
	v_mul_hi_u32 v3, s37, v1
	s_addc_u32 s1, s1, 0
	s_add_i32 s8, s8, -2
	s_cmp_eq_u32 s8, 0
	v_add_u32_e32 v3, v1, v3
	v_lshrrev_b32_e32 v3, s38, v3
	v_mul_lo_u32 v5, v3, s36
	v_mul_hi_u32 v6, s30, v3
	v_sub_u32_e32 v5, v1, v5
	v_add_u32_e32 v1, v3, v6
	v_lshrrev_b32_e32 v1, s31, v1
	v_mul_lo_u32 v8, v1, s39
	v_mul_lo_u32 v6, v5, s40
	v_mul_lo_u32 v7, v5, s41
	v_mul_lo_u32 v5, v5, s42
	v_sub_u32_e32 v3, v3, v8
	v_mul_lo_u32 v8, v3, s43
	v_mul_lo_u32 v10, v3, s34
	;; [unrolled: 1-line block ×3, first 2 shown]
	v_add3_u32 v2, v6, v2, v8
	v_add3_u32 v4, v7, v4, v10
	;; [unrolled: 1-line block ×3, first 2 shown]
	s_cbranch_scc0 .LBB5_49
; %bb.50:
	s_bitcmp1_b32 s15, 0
	s_cselect_b64 s[30:31], -1, 0
	s_and_b64 vcc, exec, s[30:31]
	s_cbranch_vccnz .LBB5_52
; %bb.51:
	s_load_dwordx2 s[30:31], s[0:1], 0x1c
	s_load_dword s8, s[0:1], 0x24
	s_load_dwordx2 s[34:35], s[0:1], 0xdc
	s_waitcnt lgkmcnt(0)
	v_mul_hi_u32 v3, s31, v1
	v_add_u32_e32 v3, v1, v3
	v_lshrrev_b32_e32 v3, s8, v3
	v_mul_lo_u32 v3, v3, s30
	s_load_dword s8, s[0:1], 0xe4
	v_sub_u32_e32 v1, v1, v3
	v_mad_u64_u32 v[2:3], s[0:1], v1, s34, v[2:3]
	v_mad_u64_u32 v[4:5], s[0:1], v1, s35, v[4:5]
	s_waitcnt lgkmcnt(0)
	v_mad_u64_u32 v[0:1], s[0:1], v1, s8, v[0:1]
.LBB5_52:
	s_cbranch_execz .LBB5_54
	s_branch .LBB5_56
.LBB5_53:
                                        ; implicit-def: $vgpr2
                                        ; implicit-def: $vgpr4
                                        ; implicit-def: $vgpr0
.LBB5_54:
	v_mul_hi_u32 v0, s10, v9
	s_andn2_b64 vcc, exec, s[28:29]
	v_add_u32_e32 v0, v9, v0
	v_lshrrev_b32_e32 v1, s11, v0
	v_mul_lo_u32 v0, v1, s9
	v_sub_u32_e32 v0, v9, v0
	v_mul_lo_u32 v2, v0, s24
	v_mul_lo_u32 v4, v0, s25
	;; [unrolled: 1-line block ×3, first 2 shown]
	s_cbranch_vccnz .LBB5_56
; %bb.55:
	v_mul_hi_u32 v3, s13, v1
	v_add_u32_e32 v3, v1, v3
	v_lshrrev_b32_e32 v3, s14, v3
	v_mul_lo_u32 v3, v3, s12
	v_sub_u32_e32 v1, v1, v3
	v_mad_u64_u32 v[2:3], s[0:1], v1, s27, v[2:3]
	v_mad_u64_u32 v[4:5], s[0:1], v1, s6, v[4:5]
	;; [unrolled: 1-line block ×3, first 2 shown]
.LBB5_56:
	s_andn2_b64 vcc, exec, s[4:5]
	s_cbranch_vccnz .LBB5_59
; %bb.57:
	s_waitcnt lgkmcnt(0)
	global_load_dwordx2 v[5:6], v2, s[20:21]
	v_mov_b32_e32 v3, s21
	v_add_co_u32_e32 v1, vcc, s20, v2
	v_addc_co_u32_e32 v2, vcc, 0, v3, vcc
	v_mov_b32_e32 v7, s23
	v_add_co_u32_e32 v3, vcc, s22, v4
	v_addc_co_u32_e32 v4, vcc, 0, v7, vcc
	v_mov_b32_e32 v8, s3
	v_add_co_u32_e32 v7, vcc, s2, v0
	s_ashr_i32 s19, s18, 31
	s_ashr_i32 s3, s17, 31
	s_mov_b32 s2, s17
	s_lshl_b64 s[0:1], s[18:19], 3
	s_lshl_b64 s[2:3], s[2:3], 3
	v_addc_co_u32_e32 v8, vcc, 0, v8, vcc
	v_mov_b32_e32 v0, s1
	v_mov_b32_e32 v9, s3
.LBB5_58:                               ; =>This Inner Loop Header: Depth=1
	global_load_dwordx2 v[10:11], v[3:4], off
	global_load_dwordx2 v[12:13], v[7:8], off
	v_add_co_u32_e32 v7, vcc, s0, v7
	v_addc_co_u32_e32 v8, vcc, v8, v0, vcc
	s_add_i32 s16, s16, -1
	v_add_co_u32_e32 v3, vcc, s2, v3
	v_addc_co_u32_e32 v4, vcc, v4, v9, vcc
	s_cmp_lg_u32 s16, 0
	s_waitcnt vmcnt(0)
	v_fma_f64 v[5:6], v[10:11], v[12:13], v[5:6]
	global_store_dwordx2 v[1:2], v[5:6], off
	s_cbranch_scc1 .LBB5_58
.LBB5_59:
	s_endpgm
	.section	.rodata,"a",@progbits
	.p2align	6, 0x0
	.amdhsa_kernel _ZN2at6native12_GLOBAL__N_116_elemwise_kernelILi256ELi4EZNS1_43_compute_linear_combination_internal_kernelIdEEvRNS_14TensorIteratorEiiiEUliE_EEviT1_
		.amdhsa_group_segment_fixed_size 0
		.amdhsa_private_segment_fixed_size 0
		.amdhsa_kernarg_size 440
		.amdhsa_user_sgpr_count 6
		.amdhsa_user_sgpr_private_segment_buffer 1
		.amdhsa_user_sgpr_dispatch_ptr 0
		.amdhsa_user_sgpr_queue_ptr 0
		.amdhsa_user_sgpr_kernarg_segment_ptr 1
		.amdhsa_user_sgpr_dispatch_id 0
		.amdhsa_user_sgpr_flat_scratch_init 0
		.amdhsa_user_sgpr_private_segment_size 0
		.amdhsa_uses_dynamic_stack 0
		.amdhsa_system_sgpr_private_segment_wavefront_offset 0
		.amdhsa_system_sgpr_workgroup_id_x 1
		.amdhsa_system_sgpr_workgroup_id_y 0
		.amdhsa_system_sgpr_workgroup_id_z 0
		.amdhsa_system_sgpr_workgroup_info 0
		.amdhsa_system_vgpr_workitem_id 0
		.amdhsa_next_free_vgpr 15
		.amdhsa_next_free_sgpr 52
		.amdhsa_reserve_vcc 1
		.amdhsa_reserve_flat_scratch 0
		.amdhsa_float_round_mode_32 0
		.amdhsa_float_round_mode_16_64 0
		.amdhsa_float_denorm_mode_32 3
		.amdhsa_float_denorm_mode_16_64 3
		.amdhsa_dx10_clamp 1
		.amdhsa_ieee_mode 1
		.amdhsa_fp16_overflow 0
		.amdhsa_exception_fp_ieee_invalid_op 0
		.amdhsa_exception_fp_denorm_src 0
		.amdhsa_exception_fp_ieee_div_zero 0
		.amdhsa_exception_fp_ieee_overflow 0
		.amdhsa_exception_fp_ieee_underflow 0
		.amdhsa_exception_fp_ieee_inexact 0
		.amdhsa_exception_int_div_zero 0
	.end_amdhsa_kernel
	.section	.text._ZN2at6native12_GLOBAL__N_116_elemwise_kernelILi256ELi4EZNS1_43_compute_linear_combination_internal_kernelIdEEvRNS_14TensorIteratorEiiiEUliE_EEviT1_,"axG",@progbits,_ZN2at6native12_GLOBAL__N_116_elemwise_kernelILi256ELi4EZNS1_43_compute_linear_combination_internal_kernelIdEEvRNS_14TensorIteratorEiiiEUliE_EEviT1_,comdat
.Lfunc_end5:
	.size	_ZN2at6native12_GLOBAL__N_116_elemwise_kernelILi256ELi4EZNS1_43_compute_linear_combination_internal_kernelIdEEvRNS_14TensorIteratorEiiiEUliE_EEviT1_, .Lfunc_end5-_ZN2at6native12_GLOBAL__N_116_elemwise_kernelILi256ELi4EZNS1_43_compute_linear_combination_internal_kernelIdEEvRNS_14TensorIteratorEiiiEUliE_EEviT1_
                                        ; -- End function
	.set _ZN2at6native12_GLOBAL__N_116_elemwise_kernelILi256ELi4EZNS1_43_compute_linear_combination_internal_kernelIdEEvRNS_14TensorIteratorEiiiEUliE_EEviT1_.num_vgpr, 15
	.set _ZN2at6native12_GLOBAL__N_116_elemwise_kernelILi256ELi4EZNS1_43_compute_linear_combination_internal_kernelIdEEvRNS_14TensorIteratorEiiiEUliE_EEviT1_.num_agpr, 0
	.set _ZN2at6native12_GLOBAL__N_116_elemwise_kernelILi256ELi4EZNS1_43_compute_linear_combination_internal_kernelIdEEvRNS_14TensorIteratorEiiiEUliE_EEviT1_.numbered_sgpr, 52
	.set _ZN2at6native12_GLOBAL__N_116_elemwise_kernelILi256ELi4EZNS1_43_compute_linear_combination_internal_kernelIdEEvRNS_14TensorIteratorEiiiEUliE_EEviT1_.num_named_barrier, 0
	.set _ZN2at6native12_GLOBAL__N_116_elemwise_kernelILi256ELi4EZNS1_43_compute_linear_combination_internal_kernelIdEEvRNS_14TensorIteratorEiiiEUliE_EEviT1_.private_seg_size, 0
	.set _ZN2at6native12_GLOBAL__N_116_elemwise_kernelILi256ELi4EZNS1_43_compute_linear_combination_internal_kernelIdEEvRNS_14TensorIteratorEiiiEUliE_EEviT1_.uses_vcc, 1
	.set _ZN2at6native12_GLOBAL__N_116_elemwise_kernelILi256ELi4EZNS1_43_compute_linear_combination_internal_kernelIdEEvRNS_14TensorIteratorEiiiEUliE_EEviT1_.uses_flat_scratch, 0
	.set _ZN2at6native12_GLOBAL__N_116_elemwise_kernelILi256ELi4EZNS1_43_compute_linear_combination_internal_kernelIdEEvRNS_14TensorIteratorEiiiEUliE_EEviT1_.has_dyn_sized_stack, 0
	.set _ZN2at6native12_GLOBAL__N_116_elemwise_kernelILi256ELi4EZNS1_43_compute_linear_combination_internal_kernelIdEEvRNS_14TensorIteratorEiiiEUliE_EEviT1_.has_recursion, 0
	.set _ZN2at6native12_GLOBAL__N_116_elemwise_kernelILi256ELi4EZNS1_43_compute_linear_combination_internal_kernelIdEEvRNS_14TensorIteratorEiiiEUliE_EEviT1_.has_indirect_call, 0
	.section	.AMDGPU.csdata,"",@progbits
; Kernel info:
; codeLenInByte = 2792
; TotalNumSgprs: 56
; NumVgprs: 15
; ScratchSize: 0
; MemoryBound: 0
; FloatMode: 240
; IeeeMode: 1
; LDSByteSize: 0 bytes/workgroup (compile time only)
; SGPRBlocks: 6
; VGPRBlocks: 3
; NumSGPRsForWavesPerEU: 56
; NumVGPRsForWavesPerEU: 15
; Occupancy: 10
; WaveLimiterHint : 1
; COMPUTE_PGM_RSRC2:SCRATCH_EN: 0
; COMPUTE_PGM_RSRC2:USER_SGPR: 6
; COMPUTE_PGM_RSRC2:TRAP_HANDLER: 0
; COMPUTE_PGM_RSRC2:TGID_X_EN: 1
; COMPUTE_PGM_RSRC2:TGID_Y_EN: 0
; COMPUTE_PGM_RSRC2:TGID_Z_EN: 0
; COMPUTE_PGM_RSRC2:TIDIG_COMP_CNT: 0
	.section	.text._ZN2at6native12_GLOBAL__N_116_elemwise_kernelILi256ELi4EZNS1_43_compute_linear_combination_internal_kernelIfEEvRNS_14TensorIteratorEiiiEUliE_EEviT1_,"axG",@progbits,_ZN2at6native12_GLOBAL__N_116_elemwise_kernelILi256ELi4EZNS1_43_compute_linear_combination_internal_kernelIfEEvRNS_14TensorIteratorEiiiEUliE_EEviT1_,comdat
	.globl	_ZN2at6native12_GLOBAL__N_116_elemwise_kernelILi256ELi4EZNS1_43_compute_linear_combination_internal_kernelIfEEvRNS_14TensorIteratorEiiiEUliE_EEviT1_ ; -- Begin function _ZN2at6native12_GLOBAL__N_116_elemwise_kernelILi256ELi4EZNS1_43_compute_linear_combination_internal_kernelIfEEvRNS_14TensorIteratorEiiiEUliE_EEviT1_
	.p2align	8
	.type	_ZN2at6native12_GLOBAL__N_116_elemwise_kernelILi256ELi4EZNS1_43_compute_linear_combination_internal_kernelIfEEvRNS_14TensorIteratorEiiiEUliE_EEviT1_,@function
_ZN2at6native12_GLOBAL__N_116_elemwise_kernelILi256ELi4EZNS1_43_compute_linear_combination_internal_kernelIfEEvRNS_14TensorIteratorEiiiEUliE_EEviT1_: ; @_ZN2at6native12_GLOBAL__N_116_elemwise_kernelILi256ELi4EZNS1_43_compute_linear_combination_internal_kernelIfEEvRNS_14TensorIteratorEiiiEUliE_EEviT1_
; %bb.0:
	s_load_dword s41, s[4:5], 0x0
	s_load_dwordx8 s[8:15], s[4:5], 0x8
	v_lshl_or_b32 v7, s6, 10, v0
	s_load_dwordx4 s[24:27], s[4:5], 0xcc
	s_load_dwordx2 s[6:7], s[4:5], 0xdc
	s_load_dwordx4 s[16:19], s[4:5], 0x1a8
	s_add_u32 s33, s4, 8
	s_addc_u32 s40, s5, 0
	s_waitcnt lgkmcnt(0)
	v_sub_co_u32_e64 v0, s[0:1], s8, 1
	s_xor_b64 s[30:31], s[0:1], -1
	v_readfirstlane_b32 s0, v0
	s_load_dwordx2 s[2:3], s[4:5], 0x1a0
	s_load_dwordx4 s[20:23], s[4:5], 0x190
	s_min_u32 s15, s0, 15
	s_cmp_gt_u32 s8, 1
	v_cmp_lt_u32_e64 s[0:1], 1, v0
	s_cselect_b64 s[28:29], -1, 0
	s_cmp_gt_i32 s16, 0
	v_cndmask_b32_e64 v0, 0, 1, s[0:1]
	s_mov_b64 s[36:37], -1
	s_cselect_b64 s[4:5], -1, 0
	v_cmp_gt_i32_e32 vcc, s41, v7
	v_cmp_ne_u32_e64 s[0:1], 1, v0
	s_and_saveexec_b64 s[34:35], vcc
	s_cbranch_execnz .LBB6_4
; %bb.1:
	s_or_b64 exec, exec, s[34:35]
	v_cmp_gt_i32_e32 vcc, s41, v7
	s_and_saveexec_b64 s[34:35], vcc
	s_cbranch_execnz .LBB6_18
.LBB6_2:
	s_or_b64 exec, exec, s[34:35]
	v_cmp_gt_i32_e32 vcc, s41, v7
	s_and_saveexec_b64 s[34:35], vcc
	s_cbranch_execnz .LBB6_32
.LBB6_3:
	s_or_b64 exec, exec, s[34:35]
	v_cmp_gt_i32_e32 vcc, s41, v7
	s_and_saveexec_b64 s[34:35], vcc
	s_cbranch_execnz .LBB6_46
	s_branch .LBB6_59
.LBB6_4:
	s_and_b64 vcc, exec, s[0:1]
                                        ; implicit-def: $vgpr2
                                        ; implicit-def: $vgpr4
                                        ; implicit-def: $vgpr0
	s_cbranch_vccnz .LBB6_11
; %bb.5:
	v_mov_b32_e32 v2, 0
	s_andn2_b64 vcc, exec, s[30:31]
	v_mov_b32_e32 v4, 0
	v_mov_b32_e32 v0, 0
	s_cbranch_vccnz .LBB6_10
; %bb.6:
	s_add_i32 s8, s15, 1
	s_and_b32 s8, s8, 30
	s_add_u32 s36, s33, 0xffffffe8
	s_addc_u32 s37, s40, -1
	v_mov_b32_e32 v0, 0
	v_mov_b32_e32 v4, 0
	;; [unrolled: 1-line block ×4, first 2 shown]
.LBB6_7:                                ; =>This Inner Loop Header: Depth=1
	s_load_dwordx4 s[44:47], s[36:37], 0x1c
	s_load_dwordx2 s[38:39], s[36:37], 0x2c
	s_load_dwordx2 s[42:43], s[36:37], 0xec
	s_load_dwordx4 s[48:51], s[36:37], 0xdc
	s_add_u32 s36, s36, 24
	s_waitcnt lgkmcnt(0)
	v_mul_hi_u32 v3, s45, v1
	s_addc_u32 s37, s37, 0
	s_add_i32 s8, s8, -2
	s_cmp_lg_u32 s8, 0
	v_add_u32_e32 v3, v1, v3
	v_lshrrev_b32_e32 v3, s46, v3
	v_mul_lo_u32 v5, v3, s44
	v_mul_hi_u32 v6, s38, v3
	v_sub_u32_e32 v5, v1, v5
	v_add_u32_e32 v1, v3, v6
	v_lshrrev_b32_e32 v1, s39, v1
	v_mul_lo_u32 v9, v1, s47
	v_mul_lo_u32 v6, v5, s48
	v_mul_lo_u32 v8, v5, s49
	v_mul_lo_u32 v5, v5, s50
	v_sub_u32_e32 v3, v3, v9
	v_mul_lo_u32 v9, v3, s51
	v_mul_lo_u32 v10, v3, s42
	;; [unrolled: 1-line block ×3, first 2 shown]
	v_add3_u32 v2, v6, v2, v9
	v_add3_u32 v4, v8, v4, v10
	;; [unrolled: 1-line block ×3, first 2 shown]
	s_cbranch_scc1 .LBB6_7
; %bb.8:
	s_bitcmp1_b32 s15, 0
	s_cselect_b64 s[38:39], -1, 0
	s_and_b64 vcc, exec, s[38:39]
	s_cbranch_vccnz .LBB6_10
; %bb.9:
	s_load_dwordx2 s[38:39], s[36:37], 0x1c
	s_load_dword s8, s[36:37], 0x24
	s_load_dwordx2 s[42:43], s[36:37], 0xdc
	s_waitcnt lgkmcnt(0)
	v_mul_hi_u32 v3, s39, v1
	v_add_u32_e32 v3, v1, v3
	v_lshrrev_b32_e32 v3, s8, v3
	v_mul_lo_u32 v3, v3, s38
	s_load_dword s8, s[36:37], 0xe4
	v_sub_u32_e32 v1, v1, v3
	v_mad_u64_u32 v[2:3], s[36:37], v1, s42, v[2:3]
	v_mad_u64_u32 v[4:5], s[36:37], v1, s43, v[4:5]
	s_waitcnt lgkmcnt(0)
	v_mad_u64_u32 v[0:1], s[36:37], v1, s8, v[0:1]
.LBB6_10:
	s_mov_b64 s[36:37], 0
.LBB6_11:
	s_andn2_b64 vcc, exec, s[36:37]
	s_cbranch_vccnz .LBB6_14
; %bb.12:
	v_mul_hi_u32 v0, s10, v7
	s_andn2_b64 vcc, exec, s[28:29]
	v_add_u32_e32 v0, v7, v0
	v_lshrrev_b32_e32 v1, s11, v0
	v_mul_lo_u32 v0, v1, s9
	v_sub_u32_e32 v0, v7, v0
	v_mul_lo_u32 v2, v0, s24
	v_mul_lo_u32 v4, v0, s25
	;; [unrolled: 1-line block ×3, first 2 shown]
	s_cbranch_vccnz .LBB6_14
; %bb.13:
	v_mul_hi_u32 v3, s13, v1
	v_add_u32_e32 v3, v1, v3
	v_lshrrev_b32_e32 v3, s14, v3
	v_mul_lo_u32 v3, v3, s12
	v_sub_u32_e32 v1, v1, v3
	v_mad_u64_u32 v[2:3], s[36:37], v1, s27, v[2:3]
	v_mad_u64_u32 v[4:5], s[36:37], v1, s6, v[4:5]
	;; [unrolled: 1-line block ×3, first 2 shown]
.LBB6_14:
	s_andn2_b64 vcc, exec, s[4:5]
	s_cbranch_vccnz .LBB6_17
; %bb.15:
	s_waitcnt lgkmcnt(0)
	global_load_dword v8, v2, s[20:21]
	v_mov_b32_e32 v3, s21
	v_add_co_u32_e32 v1, vcc, s20, v2
	v_addc_co_u32_e32 v2, vcc, 0, v3, vcc
	v_mov_b32_e32 v5, s23
	v_add_co_u32_e32 v3, vcc, s22, v4
	v_addc_co_u32_e32 v4, vcc, 0, v5, vcc
	s_ashr_i32 s19, s18, 31
	s_ashr_i32 s39, s17, 31
	s_mov_b32 s38, s17
	v_mov_b32_e32 v6, s3
	v_add_co_u32_e32 v5, vcc, s2, v0
	s_lshl_b64 s[36:37], s[18:19], 2
	s_lshl_b64 s[38:39], s[38:39], 2
	v_addc_co_u32_e32 v6, vcc, 0, v6, vcc
	v_mov_b32_e32 v0, s37
	v_mov_b32_e32 v9, s39
	s_mov_b32 s8, s16
.LBB6_16:                               ; =>This Inner Loop Header: Depth=1
	global_load_dword v10, v[3:4], off
	global_load_dword v11, v[5:6], off
	v_add_co_u32_e32 v5, vcc, s36, v5
	v_addc_co_u32_e32 v6, vcc, v6, v0, vcc
	s_add_i32 s8, s8, -1
	v_add_co_u32_e32 v3, vcc, s38, v3
	v_addc_co_u32_e32 v4, vcc, v4, v9, vcc
	s_cmp_lg_u32 s8, 0
	s_waitcnt vmcnt(0)
	v_fmac_f32_e32 v8, v10, v11
	global_store_dword v[1:2], v8, off
	s_cbranch_scc1 .LBB6_16
.LBB6_17:
	v_add_u32_e32 v7, 0x100, v7
	s_or_b64 exec, exec, s[34:35]
	v_cmp_gt_i32_e32 vcc, s41, v7
	s_and_saveexec_b64 s[34:35], vcc
	s_cbranch_execz .LBB6_2
.LBB6_18:
	s_and_b64 vcc, exec, s[0:1]
	s_cbranch_vccnz .LBB6_25
; %bb.19:
	v_mov_b32_e32 v2, 0
	s_andn2_b64 vcc, exec, s[30:31]
	v_mov_b32_e32 v4, 0
	v_mov_b32_e32 v0, 0
	s_cbranch_vccnz .LBB6_24
; %bb.20:
	s_add_i32 s8, s15, 1
	s_and_b32 s8, s8, 30
	s_add_u32 s36, s33, 0xffffffe8
	s_addc_u32 s37, s40, -1
	v_mov_b32_e32 v0, 0
	v_mov_b32_e32 v4, 0
	;; [unrolled: 1-line block ×4, first 2 shown]
.LBB6_21:                               ; =>This Inner Loop Header: Depth=1
	s_load_dwordx4 s[44:47], s[36:37], 0x1c
	s_load_dwordx2 s[38:39], s[36:37], 0x2c
	s_load_dwordx2 s[42:43], s[36:37], 0xec
	s_load_dwordx4 s[48:51], s[36:37], 0xdc
	s_add_u32 s36, s36, 24
	s_waitcnt lgkmcnt(0)
	v_mul_hi_u32 v3, s45, v1
	s_addc_u32 s37, s37, 0
	s_add_i32 s8, s8, -2
	s_cmp_eq_u32 s8, 0
	v_add_u32_e32 v3, v1, v3
	v_lshrrev_b32_e32 v3, s46, v3
	v_mul_lo_u32 v5, v3, s44
	v_mul_hi_u32 v6, s38, v3
	v_sub_u32_e32 v5, v1, v5
	v_add_u32_e32 v1, v3, v6
	v_lshrrev_b32_e32 v1, s39, v1
	v_mul_lo_u32 v9, v1, s47
	v_mul_lo_u32 v6, v5, s48
	;; [unrolled: 1-line block ×4, first 2 shown]
	v_sub_u32_e32 v3, v3, v9
	v_mul_lo_u32 v9, v3, s51
	v_mul_lo_u32 v10, v3, s42
	;; [unrolled: 1-line block ×3, first 2 shown]
	v_add3_u32 v2, v6, v2, v9
	v_add3_u32 v4, v8, v4, v10
	;; [unrolled: 1-line block ×3, first 2 shown]
	s_cbranch_scc0 .LBB6_21
; %bb.22:
	s_bitcmp1_b32 s15, 0
	s_cselect_b64 s[38:39], -1, 0
	s_and_b64 vcc, exec, s[38:39]
	s_cbranch_vccnz .LBB6_24
; %bb.23:
	s_load_dwordx2 s[38:39], s[36:37], 0x1c
	s_load_dword s8, s[36:37], 0x24
	s_load_dwordx2 s[42:43], s[36:37], 0xdc
	s_waitcnt lgkmcnt(0)
	v_mul_hi_u32 v3, s39, v1
	v_add_u32_e32 v3, v1, v3
	v_lshrrev_b32_e32 v3, s8, v3
	v_mul_lo_u32 v3, v3, s38
	s_load_dword s8, s[36:37], 0xe4
	v_sub_u32_e32 v1, v1, v3
	v_mad_u64_u32 v[2:3], s[36:37], v1, s42, v[2:3]
	v_mad_u64_u32 v[4:5], s[36:37], v1, s43, v[4:5]
	s_waitcnt lgkmcnt(0)
	v_mad_u64_u32 v[0:1], s[36:37], v1, s8, v[0:1]
.LBB6_24:
	s_cbranch_execz .LBB6_26
	s_branch .LBB6_28
.LBB6_25:
                                        ; implicit-def: $vgpr2
                                        ; implicit-def: $vgpr4
                                        ; implicit-def: $vgpr0
.LBB6_26:
	v_mul_hi_u32 v0, s10, v7
	s_andn2_b64 vcc, exec, s[28:29]
	v_add_u32_e32 v0, v7, v0
	v_lshrrev_b32_e32 v1, s11, v0
	v_mul_lo_u32 v0, v1, s9
	v_sub_u32_e32 v0, v7, v0
	v_mul_lo_u32 v2, v0, s24
	v_mul_lo_u32 v4, v0, s25
	;; [unrolled: 1-line block ×3, first 2 shown]
	s_cbranch_vccnz .LBB6_28
; %bb.27:
	v_mul_hi_u32 v3, s13, v1
	v_add_u32_e32 v3, v1, v3
	v_lshrrev_b32_e32 v3, s14, v3
	v_mul_lo_u32 v3, v3, s12
	v_sub_u32_e32 v1, v1, v3
	v_mad_u64_u32 v[2:3], s[36:37], v1, s27, v[2:3]
	v_mad_u64_u32 v[4:5], s[36:37], v1, s6, v[4:5]
	;; [unrolled: 1-line block ×3, first 2 shown]
.LBB6_28:
	s_andn2_b64 vcc, exec, s[4:5]
	s_cbranch_vccnz .LBB6_31
; %bb.29:
	s_waitcnt lgkmcnt(0)
	global_load_dword v8, v2, s[20:21]
	v_mov_b32_e32 v3, s21
	v_add_co_u32_e32 v1, vcc, s20, v2
	v_addc_co_u32_e32 v2, vcc, 0, v3, vcc
	v_mov_b32_e32 v5, s23
	v_add_co_u32_e32 v3, vcc, s22, v4
	v_addc_co_u32_e32 v4, vcc, 0, v5, vcc
	s_ashr_i32 s19, s18, 31
	s_ashr_i32 s39, s17, 31
	s_mov_b32 s38, s17
	v_mov_b32_e32 v6, s3
	v_add_co_u32_e32 v5, vcc, s2, v0
	s_lshl_b64 s[36:37], s[18:19], 2
	s_lshl_b64 s[38:39], s[38:39], 2
	v_addc_co_u32_e32 v6, vcc, 0, v6, vcc
	v_mov_b32_e32 v0, s37
	v_mov_b32_e32 v9, s39
	s_mov_b32 s8, s16
.LBB6_30:                               ; =>This Inner Loop Header: Depth=1
	global_load_dword v10, v[3:4], off
	global_load_dword v11, v[5:6], off
	v_add_co_u32_e32 v5, vcc, s36, v5
	v_addc_co_u32_e32 v6, vcc, v6, v0, vcc
	s_add_i32 s8, s8, -1
	v_add_co_u32_e32 v3, vcc, s38, v3
	v_addc_co_u32_e32 v4, vcc, v4, v9, vcc
	s_cmp_lg_u32 s8, 0
	s_waitcnt vmcnt(0)
	v_fmac_f32_e32 v8, v10, v11
	global_store_dword v[1:2], v8, off
	s_cbranch_scc1 .LBB6_30
.LBB6_31:
	v_add_u32_e32 v7, 0x100, v7
	s_or_b64 exec, exec, s[34:35]
	v_cmp_gt_i32_e32 vcc, s41, v7
	s_and_saveexec_b64 s[34:35], vcc
	s_cbranch_execz .LBB6_3
.LBB6_32:
	s_and_b64 vcc, exec, s[0:1]
	s_cbranch_vccnz .LBB6_39
; %bb.33:
	v_mov_b32_e32 v2, 0
	s_andn2_b64 vcc, exec, s[30:31]
	v_mov_b32_e32 v4, 0
	v_mov_b32_e32 v0, 0
	s_cbranch_vccnz .LBB6_38
; %bb.34:
	s_add_i32 s8, s15, 1
	s_and_b32 s8, s8, 30
	s_add_u32 s36, s33, 0xffffffe8
	s_addc_u32 s37, s40, -1
	v_mov_b32_e32 v0, 0
	v_mov_b32_e32 v4, 0
	;; [unrolled: 1-line block ×4, first 2 shown]
.LBB6_35:                               ; =>This Inner Loop Header: Depth=1
	s_load_dwordx4 s[44:47], s[36:37], 0x1c
	s_load_dwordx2 s[38:39], s[36:37], 0x2c
	s_load_dwordx2 s[42:43], s[36:37], 0xec
	s_load_dwordx4 s[48:51], s[36:37], 0xdc
	s_add_u32 s36, s36, 24
	s_waitcnt lgkmcnt(0)
	v_mul_hi_u32 v3, s45, v1
	s_addc_u32 s37, s37, 0
	s_add_i32 s8, s8, -2
	s_cmp_eq_u32 s8, 0
	v_add_u32_e32 v3, v1, v3
	v_lshrrev_b32_e32 v3, s46, v3
	v_mul_lo_u32 v5, v3, s44
	v_mul_hi_u32 v6, s38, v3
	v_sub_u32_e32 v5, v1, v5
	v_add_u32_e32 v1, v3, v6
	v_lshrrev_b32_e32 v1, s39, v1
	v_mul_lo_u32 v9, v1, s47
	v_mul_lo_u32 v6, v5, s48
	;; [unrolled: 1-line block ×4, first 2 shown]
	v_sub_u32_e32 v3, v3, v9
	v_mul_lo_u32 v9, v3, s51
	v_mul_lo_u32 v10, v3, s42
	;; [unrolled: 1-line block ×3, first 2 shown]
	v_add3_u32 v2, v6, v2, v9
	v_add3_u32 v4, v8, v4, v10
	;; [unrolled: 1-line block ×3, first 2 shown]
	s_cbranch_scc0 .LBB6_35
; %bb.36:
	s_bitcmp1_b32 s15, 0
	s_cselect_b64 s[38:39], -1, 0
	s_and_b64 vcc, exec, s[38:39]
	s_cbranch_vccnz .LBB6_38
; %bb.37:
	s_load_dwordx2 s[38:39], s[36:37], 0x1c
	s_load_dword s8, s[36:37], 0x24
	s_load_dwordx2 s[42:43], s[36:37], 0xdc
	s_waitcnt lgkmcnt(0)
	v_mul_hi_u32 v3, s39, v1
	v_add_u32_e32 v3, v1, v3
	v_lshrrev_b32_e32 v3, s8, v3
	v_mul_lo_u32 v3, v3, s38
	s_load_dword s8, s[36:37], 0xe4
	v_sub_u32_e32 v1, v1, v3
	v_mad_u64_u32 v[2:3], s[36:37], v1, s42, v[2:3]
	v_mad_u64_u32 v[4:5], s[36:37], v1, s43, v[4:5]
	s_waitcnt lgkmcnt(0)
	v_mad_u64_u32 v[0:1], s[36:37], v1, s8, v[0:1]
.LBB6_38:
	s_cbranch_execz .LBB6_40
	s_branch .LBB6_42
.LBB6_39:
                                        ; implicit-def: $vgpr2
                                        ; implicit-def: $vgpr4
                                        ; implicit-def: $vgpr0
.LBB6_40:
	v_mul_hi_u32 v0, s10, v7
	s_andn2_b64 vcc, exec, s[28:29]
	v_add_u32_e32 v0, v7, v0
	v_lshrrev_b32_e32 v1, s11, v0
	v_mul_lo_u32 v0, v1, s9
	v_sub_u32_e32 v0, v7, v0
	v_mul_lo_u32 v2, v0, s24
	v_mul_lo_u32 v4, v0, s25
	;; [unrolled: 1-line block ×3, first 2 shown]
	s_cbranch_vccnz .LBB6_42
; %bb.41:
	v_mul_hi_u32 v3, s13, v1
	v_add_u32_e32 v3, v1, v3
	v_lshrrev_b32_e32 v3, s14, v3
	v_mul_lo_u32 v3, v3, s12
	v_sub_u32_e32 v1, v1, v3
	v_mad_u64_u32 v[2:3], s[36:37], v1, s27, v[2:3]
	v_mad_u64_u32 v[4:5], s[36:37], v1, s6, v[4:5]
	;; [unrolled: 1-line block ×3, first 2 shown]
.LBB6_42:
	s_andn2_b64 vcc, exec, s[4:5]
	s_cbranch_vccnz .LBB6_45
; %bb.43:
	s_waitcnt lgkmcnt(0)
	global_load_dword v8, v2, s[20:21]
	v_mov_b32_e32 v3, s21
	v_add_co_u32_e32 v1, vcc, s20, v2
	v_addc_co_u32_e32 v2, vcc, 0, v3, vcc
	v_mov_b32_e32 v5, s23
	v_add_co_u32_e32 v3, vcc, s22, v4
	v_addc_co_u32_e32 v4, vcc, 0, v5, vcc
	s_ashr_i32 s19, s18, 31
	s_ashr_i32 s39, s17, 31
	s_mov_b32 s38, s17
	v_mov_b32_e32 v6, s3
	v_add_co_u32_e32 v5, vcc, s2, v0
	s_lshl_b64 s[36:37], s[18:19], 2
	s_lshl_b64 s[38:39], s[38:39], 2
	v_addc_co_u32_e32 v6, vcc, 0, v6, vcc
	v_mov_b32_e32 v0, s37
	v_mov_b32_e32 v9, s39
	s_mov_b32 s8, s16
.LBB6_44:                               ; =>This Inner Loop Header: Depth=1
	global_load_dword v10, v[3:4], off
	global_load_dword v11, v[5:6], off
	v_add_co_u32_e32 v5, vcc, s36, v5
	v_addc_co_u32_e32 v6, vcc, v6, v0, vcc
	s_add_i32 s8, s8, -1
	v_add_co_u32_e32 v3, vcc, s38, v3
	v_addc_co_u32_e32 v4, vcc, v4, v9, vcc
	s_cmp_lg_u32 s8, 0
	s_waitcnt vmcnt(0)
	v_fmac_f32_e32 v8, v10, v11
	global_store_dword v[1:2], v8, off
	s_cbranch_scc1 .LBB6_44
.LBB6_45:
	v_add_u32_e32 v7, 0x100, v7
	s_or_b64 exec, exec, s[34:35]
	v_cmp_gt_i32_e32 vcc, s41, v7
	s_and_saveexec_b64 s[34:35], vcc
	s_cbranch_execz .LBB6_59
.LBB6_46:
	s_and_b64 vcc, exec, s[0:1]
	s_cbranch_vccnz .LBB6_53
; %bb.47:
	v_mov_b32_e32 v2, 0
	s_andn2_b64 vcc, exec, s[30:31]
	v_mov_b32_e32 v4, 0
	v_mov_b32_e32 v0, 0
	s_cbranch_vccnz .LBB6_52
; %bb.48:
	s_add_i32 s0, s15, 1
	s_and_b32 s8, s0, 30
	s_add_u32 s0, s33, 0xffffffe8
	s_addc_u32 s1, s40, -1
	v_mov_b32_e32 v0, 0
	v_mov_b32_e32 v4, 0
	;; [unrolled: 1-line block ×4, first 2 shown]
.LBB6_49:                               ; =>This Inner Loop Header: Depth=1
	s_load_dwordx4 s[36:39], s[0:1], 0x1c
	s_load_dwordx2 s[30:31], s[0:1], 0x2c
	s_load_dwordx2 s[34:35], s[0:1], 0xec
	s_load_dwordx4 s[40:43], s[0:1], 0xdc
	s_add_u32 s0, s0, 24
	s_waitcnt lgkmcnt(0)
	v_mul_hi_u32 v3, s37, v1
	s_addc_u32 s1, s1, 0
	s_add_i32 s8, s8, -2
	s_cmp_eq_u32 s8, 0
	v_add_u32_e32 v3, v1, v3
	v_lshrrev_b32_e32 v3, s38, v3
	v_mul_lo_u32 v5, v3, s36
	v_mul_hi_u32 v6, s30, v3
	v_sub_u32_e32 v5, v1, v5
	v_add_u32_e32 v1, v3, v6
	v_lshrrev_b32_e32 v1, s31, v1
	v_mul_lo_u32 v9, v1, s39
	v_mul_lo_u32 v6, v5, s40
	;; [unrolled: 1-line block ×4, first 2 shown]
	v_sub_u32_e32 v3, v3, v9
	v_mul_lo_u32 v9, v3, s43
	v_mul_lo_u32 v10, v3, s34
	;; [unrolled: 1-line block ×3, first 2 shown]
	v_add3_u32 v2, v6, v2, v9
	v_add3_u32 v4, v8, v4, v10
	;; [unrolled: 1-line block ×3, first 2 shown]
	s_cbranch_scc0 .LBB6_49
; %bb.50:
	s_bitcmp1_b32 s15, 0
	s_cselect_b64 s[30:31], -1, 0
	s_and_b64 vcc, exec, s[30:31]
	s_cbranch_vccnz .LBB6_52
; %bb.51:
	s_load_dwordx2 s[30:31], s[0:1], 0x1c
	s_load_dword s8, s[0:1], 0x24
	s_load_dwordx2 s[34:35], s[0:1], 0xdc
	s_waitcnt lgkmcnt(0)
	v_mul_hi_u32 v3, s31, v1
	v_add_u32_e32 v3, v1, v3
	v_lshrrev_b32_e32 v3, s8, v3
	v_mul_lo_u32 v3, v3, s30
	s_load_dword s8, s[0:1], 0xe4
	v_sub_u32_e32 v1, v1, v3
	v_mad_u64_u32 v[2:3], s[0:1], v1, s34, v[2:3]
	v_mad_u64_u32 v[4:5], s[0:1], v1, s35, v[4:5]
	s_waitcnt lgkmcnt(0)
	v_mad_u64_u32 v[0:1], s[0:1], v1, s8, v[0:1]
.LBB6_52:
	s_cbranch_execz .LBB6_54
	s_branch .LBB6_56
.LBB6_53:
                                        ; implicit-def: $vgpr2
                                        ; implicit-def: $vgpr4
                                        ; implicit-def: $vgpr0
.LBB6_54:
	v_mul_hi_u32 v0, s10, v7
	s_andn2_b64 vcc, exec, s[28:29]
	v_add_u32_e32 v0, v7, v0
	v_lshrrev_b32_e32 v1, s11, v0
	v_mul_lo_u32 v0, v1, s9
	v_sub_u32_e32 v0, v7, v0
	v_mul_lo_u32 v2, v0, s24
	v_mul_lo_u32 v4, v0, s25
	;; [unrolled: 1-line block ×3, first 2 shown]
	s_cbranch_vccnz .LBB6_56
; %bb.55:
	v_mul_hi_u32 v3, s13, v1
	v_add_u32_e32 v3, v1, v3
	v_lshrrev_b32_e32 v3, s14, v3
	v_mul_lo_u32 v3, v3, s12
	v_sub_u32_e32 v1, v1, v3
	v_mad_u64_u32 v[2:3], s[0:1], v1, s27, v[2:3]
	v_mad_u64_u32 v[4:5], s[0:1], v1, s6, v[4:5]
	;; [unrolled: 1-line block ×3, first 2 shown]
.LBB6_56:
	s_andn2_b64 vcc, exec, s[4:5]
	s_cbranch_vccnz .LBB6_59
; %bb.57:
	s_waitcnt lgkmcnt(0)
	global_load_dword v7, v2, s[20:21]
	v_mov_b32_e32 v3, s21
	v_add_co_u32_e32 v1, vcc, s20, v2
	v_addc_co_u32_e32 v2, vcc, 0, v3, vcc
	v_mov_b32_e32 v5, s23
	v_add_co_u32_e32 v3, vcc, s22, v4
	v_addc_co_u32_e32 v4, vcc, 0, v5, vcc
	v_mov_b32_e32 v6, s3
	v_add_co_u32_e32 v5, vcc, s2, v0
	s_ashr_i32 s19, s18, 31
	s_ashr_i32 s3, s17, 31
	s_mov_b32 s2, s17
	s_lshl_b64 s[0:1], s[18:19], 2
	s_lshl_b64 s[2:3], s[2:3], 2
	v_addc_co_u32_e32 v6, vcc, 0, v6, vcc
	v_mov_b32_e32 v0, s1
	v_mov_b32_e32 v8, s3
.LBB6_58:                               ; =>This Inner Loop Header: Depth=1
	global_load_dword v9, v[3:4], off
	global_load_dword v10, v[5:6], off
	v_add_co_u32_e32 v5, vcc, s0, v5
	v_addc_co_u32_e32 v6, vcc, v6, v0, vcc
	s_add_i32 s16, s16, -1
	v_add_co_u32_e32 v3, vcc, s2, v3
	v_addc_co_u32_e32 v4, vcc, v4, v8, vcc
	s_cmp_lg_u32 s16, 0
	s_waitcnt vmcnt(0)
	v_fmac_f32_e32 v7, v9, v10
	global_store_dword v[1:2], v7, off
	s_cbranch_scc1 .LBB6_58
.LBB6_59:
	s_endpgm
	.section	.rodata,"a",@progbits
	.p2align	6, 0x0
	.amdhsa_kernel _ZN2at6native12_GLOBAL__N_116_elemwise_kernelILi256ELi4EZNS1_43_compute_linear_combination_internal_kernelIfEEvRNS_14TensorIteratorEiiiEUliE_EEviT1_
		.amdhsa_group_segment_fixed_size 0
		.amdhsa_private_segment_fixed_size 0
		.amdhsa_kernarg_size 440
		.amdhsa_user_sgpr_count 6
		.amdhsa_user_sgpr_private_segment_buffer 1
		.amdhsa_user_sgpr_dispatch_ptr 0
		.amdhsa_user_sgpr_queue_ptr 0
		.amdhsa_user_sgpr_kernarg_segment_ptr 1
		.amdhsa_user_sgpr_dispatch_id 0
		.amdhsa_user_sgpr_flat_scratch_init 0
		.amdhsa_user_sgpr_private_segment_size 0
		.amdhsa_uses_dynamic_stack 0
		.amdhsa_system_sgpr_private_segment_wavefront_offset 0
		.amdhsa_system_sgpr_workgroup_id_x 1
		.amdhsa_system_sgpr_workgroup_id_y 0
		.amdhsa_system_sgpr_workgroup_id_z 0
		.amdhsa_system_sgpr_workgroup_info 0
		.amdhsa_system_vgpr_workitem_id 0
		.amdhsa_next_free_vgpr 12
		.amdhsa_next_free_sgpr 52
		.amdhsa_reserve_vcc 1
		.amdhsa_reserve_flat_scratch 0
		.amdhsa_float_round_mode_32 0
		.amdhsa_float_round_mode_16_64 0
		.amdhsa_float_denorm_mode_32 3
		.amdhsa_float_denorm_mode_16_64 3
		.amdhsa_dx10_clamp 1
		.amdhsa_ieee_mode 1
		.amdhsa_fp16_overflow 0
		.amdhsa_exception_fp_ieee_invalid_op 0
		.amdhsa_exception_fp_denorm_src 0
		.amdhsa_exception_fp_ieee_div_zero 0
		.amdhsa_exception_fp_ieee_overflow 0
		.amdhsa_exception_fp_ieee_underflow 0
		.amdhsa_exception_fp_ieee_inexact 0
		.amdhsa_exception_int_div_zero 0
	.end_amdhsa_kernel
	.section	.text._ZN2at6native12_GLOBAL__N_116_elemwise_kernelILi256ELi4EZNS1_43_compute_linear_combination_internal_kernelIfEEvRNS_14TensorIteratorEiiiEUliE_EEviT1_,"axG",@progbits,_ZN2at6native12_GLOBAL__N_116_elemwise_kernelILi256ELi4EZNS1_43_compute_linear_combination_internal_kernelIfEEvRNS_14TensorIteratorEiiiEUliE_EEviT1_,comdat
.Lfunc_end6:
	.size	_ZN2at6native12_GLOBAL__N_116_elemwise_kernelILi256ELi4EZNS1_43_compute_linear_combination_internal_kernelIfEEvRNS_14TensorIteratorEiiiEUliE_EEviT1_, .Lfunc_end6-_ZN2at6native12_GLOBAL__N_116_elemwise_kernelILi256ELi4EZNS1_43_compute_linear_combination_internal_kernelIfEEvRNS_14TensorIteratorEiiiEUliE_EEviT1_
                                        ; -- End function
	.set _ZN2at6native12_GLOBAL__N_116_elemwise_kernelILi256ELi4EZNS1_43_compute_linear_combination_internal_kernelIfEEvRNS_14TensorIteratorEiiiEUliE_EEviT1_.num_vgpr, 12
	.set _ZN2at6native12_GLOBAL__N_116_elemwise_kernelILi256ELi4EZNS1_43_compute_linear_combination_internal_kernelIfEEvRNS_14TensorIteratorEiiiEUliE_EEviT1_.num_agpr, 0
	.set _ZN2at6native12_GLOBAL__N_116_elemwise_kernelILi256ELi4EZNS1_43_compute_linear_combination_internal_kernelIfEEvRNS_14TensorIteratorEiiiEUliE_EEviT1_.numbered_sgpr, 52
	.set _ZN2at6native12_GLOBAL__N_116_elemwise_kernelILi256ELi4EZNS1_43_compute_linear_combination_internal_kernelIfEEvRNS_14TensorIteratorEiiiEUliE_EEviT1_.num_named_barrier, 0
	.set _ZN2at6native12_GLOBAL__N_116_elemwise_kernelILi256ELi4EZNS1_43_compute_linear_combination_internal_kernelIfEEvRNS_14TensorIteratorEiiiEUliE_EEviT1_.private_seg_size, 0
	.set _ZN2at6native12_GLOBAL__N_116_elemwise_kernelILi256ELi4EZNS1_43_compute_linear_combination_internal_kernelIfEEvRNS_14TensorIteratorEiiiEUliE_EEviT1_.uses_vcc, 1
	.set _ZN2at6native12_GLOBAL__N_116_elemwise_kernelILi256ELi4EZNS1_43_compute_linear_combination_internal_kernelIfEEvRNS_14TensorIteratorEiiiEUliE_EEviT1_.uses_flat_scratch, 0
	.set _ZN2at6native12_GLOBAL__N_116_elemwise_kernelILi256ELi4EZNS1_43_compute_linear_combination_internal_kernelIfEEvRNS_14TensorIteratorEiiiEUliE_EEviT1_.has_dyn_sized_stack, 0
	.set _ZN2at6native12_GLOBAL__N_116_elemwise_kernelILi256ELi4EZNS1_43_compute_linear_combination_internal_kernelIfEEvRNS_14TensorIteratorEiiiEUliE_EEviT1_.has_recursion, 0
	.set _ZN2at6native12_GLOBAL__N_116_elemwise_kernelILi256ELi4EZNS1_43_compute_linear_combination_internal_kernelIfEEvRNS_14TensorIteratorEiiiEUliE_EEviT1_.has_indirect_call, 0
	.section	.AMDGPU.csdata,"",@progbits
; Kernel info:
; codeLenInByte = 2776
; TotalNumSgprs: 56
; NumVgprs: 12
; ScratchSize: 0
; MemoryBound: 0
; FloatMode: 240
; IeeeMode: 1
; LDSByteSize: 0 bytes/workgroup (compile time only)
; SGPRBlocks: 6
; VGPRBlocks: 2
; NumSGPRsForWavesPerEU: 56
; NumVGPRsForWavesPerEU: 12
; Occupancy: 10
; WaveLimiterHint : 1
; COMPUTE_PGM_RSRC2:SCRATCH_EN: 0
; COMPUTE_PGM_RSRC2:USER_SGPR: 6
; COMPUTE_PGM_RSRC2:TRAP_HANDLER: 0
; COMPUTE_PGM_RSRC2:TGID_X_EN: 1
; COMPUTE_PGM_RSRC2:TGID_Y_EN: 0
; COMPUTE_PGM_RSRC2:TGID_Z_EN: 0
; COMPUTE_PGM_RSRC2:TIDIG_COMP_CNT: 0
	.section	.text._ZN2at6native12_GLOBAL__N_116_elemwise_kernelILi256ELi4EZNS1_43_compute_linear_combination_internal_kernelIN3c107complexIdEEEEvRNS_14TensorIteratorEiiiEUliE_EEviT1_,"axG",@progbits,_ZN2at6native12_GLOBAL__N_116_elemwise_kernelILi256ELi4EZNS1_43_compute_linear_combination_internal_kernelIN3c107complexIdEEEEvRNS_14TensorIteratorEiiiEUliE_EEviT1_,comdat
	.globl	_ZN2at6native12_GLOBAL__N_116_elemwise_kernelILi256ELi4EZNS1_43_compute_linear_combination_internal_kernelIN3c107complexIdEEEEvRNS_14TensorIteratorEiiiEUliE_EEviT1_ ; -- Begin function _ZN2at6native12_GLOBAL__N_116_elemwise_kernelILi256ELi4EZNS1_43_compute_linear_combination_internal_kernelIN3c107complexIdEEEEvRNS_14TensorIteratorEiiiEUliE_EEviT1_
	.p2align	8
	.type	_ZN2at6native12_GLOBAL__N_116_elemwise_kernelILi256ELi4EZNS1_43_compute_linear_combination_internal_kernelIN3c107complexIdEEEEvRNS_14TensorIteratorEiiiEUliE_EEviT1_,@function
_ZN2at6native12_GLOBAL__N_116_elemwise_kernelILi256ELi4EZNS1_43_compute_linear_combination_internal_kernelIN3c107complexIdEEEEvRNS_14TensorIteratorEiiiEUliE_EEviT1_: ; @_ZN2at6native12_GLOBAL__N_116_elemwise_kernelILi256ELi4EZNS1_43_compute_linear_combination_internal_kernelIN3c107complexIdEEEEvRNS_14TensorIteratorEiiiEUliE_EEviT1_
; %bb.0:
	s_load_dword s41, s[4:5], 0x0
	s_load_dwordx8 s[8:15], s[4:5], 0x8
	v_lshl_or_b32 v11, s6, 10, v0
	s_load_dwordx4 s[24:27], s[4:5], 0xcc
	s_load_dwordx2 s[6:7], s[4:5], 0xdc
	s_load_dwordx4 s[16:19], s[4:5], 0x1a8
	s_add_u32 s33, s4, 8
	s_addc_u32 s40, s5, 0
	s_waitcnt lgkmcnt(0)
	v_sub_co_u32_e64 v0, s[0:1], s8, 1
	s_xor_b64 s[30:31], s[0:1], -1
	v_readfirstlane_b32 s0, v0
	s_load_dwordx2 s[2:3], s[4:5], 0x1a0
	s_load_dwordx4 s[20:23], s[4:5], 0x190
	s_min_u32 s15, s0, 15
	s_cmp_gt_u32 s8, 1
	v_cmp_lt_u32_e64 s[0:1], 1, v0
	s_cselect_b64 s[28:29], -1, 0
	s_cmp_gt_i32 s16, 0
	v_cndmask_b32_e64 v0, 0, 1, s[0:1]
	s_mov_b64 s[36:37], -1
	s_cselect_b64 s[4:5], -1, 0
	v_cmp_gt_i32_e32 vcc, s41, v11
	v_cmp_ne_u32_e64 s[0:1], 1, v0
	s_and_saveexec_b64 s[34:35], vcc
	s_cbranch_execnz .LBB7_4
; %bb.1:
	s_or_b64 exec, exec, s[34:35]
	v_cmp_gt_i32_e32 vcc, s41, v11
	s_and_saveexec_b64 s[34:35], vcc
	s_cbranch_execnz .LBB7_18
.LBB7_2:
	s_or_b64 exec, exec, s[34:35]
	v_cmp_gt_i32_e32 vcc, s41, v11
	s_and_saveexec_b64 s[34:35], vcc
	s_cbranch_execnz .LBB7_32
.LBB7_3:
	s_or_b64 exec, exec, s[34:35]
	v_cmp_gt_i32_e32 vcc, s41, v11
	s_and_saveexec_b64 s[34:35], vcc
	s_cbranch_execnz .LBB7_46
	s_branch .LBB7_59
.LBB7_4:
	s_and_b64 vcc, exec, s[0:1]
                                        ; implicit-def: $vgpr6
                                        ; implicit-def: $vgpr4
                                        ; implicit-def: $vgpr8
	s_cbranch_vccnz .LBB7_11
; %bb.5:
	v_mov_b32_e32 v6, 0
	s_andn2_b64 vcc, exec, s[30:31]
	v_mov_b32_e32 v4, 0
	v_mov_b32_e32 v8, 0
	s_cbranch_vccnz .LBB7_10
; %bb.6:
	s_add_i32 s8, s15, 1
	s_and_b32 s8, s8, 30
	s_add_u32 s36, s33, 0xffffffe8
	s_addc_u32 s37, s40, -1
	v_mov_b32_e32 v8, 0
	v_mov_b32_e32 v4, 0
	;; [unrolled: 1-line block ×4, first 2 shown]
.LBB7_7:                                ; =>This Inner Loop Header: Depth=1
	s_load_dwordx4 s[44:47], s[36:37], 0x1c
	s_load_dwordx2 s[38:39], s[36:37], 0x2c
	s_load_dwordx2 s[42:43], s[36:37], 0xec
	s_load_dwordx4 s[48:51], s[36:37], 0xdc
	s_add_u32 s36, s36, 24
	s_waitcnt lgkmcnt(0)
	v_mul_hi_u32 v1, s45, v0
	s_addc_u32 s37, s37, 0
	s_add_i32 s8, s8, -2
	s_cmp_lg_u32 s8, 0
	v_add_u32_e32 v1, v0, v1
	v_lshrrev_b32_e32 v1, s46, v1
	v_mul_lo_u32 v2, v1, s44
	v_mul_hi_u32 v3, s38, v1
	v_sub_u32_e32 v2, v0, v2
	v_add_u32_e32 v0, v1, v3
	v_lshrrev_b32_e32 v0, s39, v0
	v_mul_lo_u32 v7, v0, s47
	v_mul_lo_u32 v3, v2, s48
	;; [unrolled: 1-line block ×4, first 2 shown]
	v_sub_u32_e32 v1, v1, v7
	v_mul_lo_u32 v7, v1, s51
	v_mul_lo_u32 v9, v1, s42
	;; [unrolled: 1-line block ×3, first 2 shown]
	v_add3_u32 v6, v3, v6, v7
	v_add3_u32 v4, v5, v4, v9
	;; [unrolled: 1-line block ×3, first 2 shown]
	s_cbranch_scc1 .LBB7_7
; %bb.8:
	s_bitcmp1_b32 s15, 0
	s_cselect_b64 s[38:39], -1, 0
	s_and_b64 vcc, exec, s[38:39]
	s_cbranch_vccnz .LBB7_10
; %bb.9:
	s_load_dwordx2 s[38:39], s[36:37], 0x1c
	s_load_dword s8, s[36:37], 0x24
	s_load_dwordx2 s[42:43], s[36:37], 0xdc
	s_waitcnt lgkmcnt(0)
	v_mul_hi_u32 v1, s39, v0
	v_add_u32_e32 v1, v0, v1
	v_lshrrev_b32_e32 v1, s8, v1
	v_mul_lo_u32 v1, v1, s38
	s_load_dword s8, s[36:37], 0xe4
	v_sub_u32_e32 v0, v0, v1
	v_mad_u64_u32 v[6:7], s[36:37], v0, s42, v[6:7]
	v_mad_u64_u32 v[4:5], s[36:37], v0, s43, v[4:5]
	s_waitcnt lgkmcnt(0)
	v_mad_u64_u32 v[8:9], s[36:37], v0, s8, v[8:9]
.LBB7_10:
	s_mov_b64 s[36:37], 0
.LBB7_11:
	s_andn2_b64 vcc, exec, s[36:37]
	s_cbranch_vccnz .LBB7_14
; %bb.12:
	v_mul_hi_u32 v0, s10, v11
	s_andn2_b64 vcc, exec, s[28:29]
	v_add_u32_e32 v0, v11, v0
	v_lshrrev_b32_e32 v0, s11, v0
	v_mul_lo_u32 v1, v0, s9
	v_sub_u32_e32 v1, v11, v1
	v_mul_lo_u32 v6, v1, s24
	v_mul_lo_u32 v4, v1, s25
	;; [unrolled: 1-line block ×3, first 2 shown]
	s_cbranch_vccnz .LBB7_14
; %bb.13:
	v_mul_hi_u32 v1, s13, v0
	v_add_u32_e32 v1, v0, v1
	v_lshrrev_b32_e32 v1, s14, v1
	v_mul_lo_u32 v1, v1, s12
	v_sub_u32_e32 v0, v0, v1
	v_mad_u64_u32 v[6:7], s[36:37], v0, s27, v[6:7]
	v_mad_u64_u32 v[4:5], s[36:37], v0, s6, v[4:5]
	;; [unrolled: 1-line block ×3, first 2 shown]
.LBB7_14:
	s_andn2_b64 vcc, exec, s[4:5]
	s_cbranch_vccnz .LBB7_17
; %bb.15:
	s_waitcnt lgkmcnt(0)
	global_load_dwordx4 v[0:3], v6, s[20:21]
	v_mov_b32_e32 v7, s21
	v_add_co_u32_e32 v5, vcc, s20, v6
	v_addc_co_u32_e32 v6, vcc, 0, v7, vcc
	v_mov_b32_e32 v9, s3
	v_add_co_u32_e32 v7, vcc, s2, v8
	v_addc_co_u32_e32 v8, vcc, 0, v9, vcc
	v_mov_b32_e32 v9, s23
	v_add_co_u32_e32 v4, vcc, s22, v4
	s_ashr_i32 s19, s18, 31
	v_addc_co_u32_e32 v10, vcc, 0, v9, vcc
	s_ashr_i32 s39, s17, 31
	s_mov_b32 s38, s17
	s_lshl_b64 s[36:37], s[18:19], 3
	v_add_co_u32_e32 v9, vcc, 8, v4
	s_lshl_b64 s[38:39], s[38:39], 4
	v_addc_co_u32_e32 v10, vcc, 0, v10, vcc
	v_mov_b32_e32 v4, s37
	v_mov_b32_e32 v12, s39
	s_mov_b32 s8, s16
.LBB7_16:                               ; =>This Inner Loop Header: Depth=1
	global_load_dwordx2 v[17:18], v[7:8], off
	global_load_dwordx4 v[13:16], v[9:10], off offset:-8
	v_add_co_u32_e32 v7, vcc, s36, v7
	v_addc_co_u32_e32 v8, vcc, v8, v4, vcc
	s_add_i32 s8, s8, -1
	v_add_co_u32_e32 v9, vcc, s38, v9
	v_addc_co_u32_e32 v10, vcc, v10, v12, vcc
	s_cmp_lg_u32 s8, 0
	s_waitcnt vmcnt(0)
	v_fma_f64 v[0:1], v[17:18], v[13:14], v[0:1]
	v_fma_f64 v[2:3], v[17:18], v[15:16], v[2:3]
	global_store_dwordx4 v[5:6], v[0:3], off
	s_cbranch_scc1 .LBB7_16
.LBB7_17:
	v_add_u32_e32 v11, 0x100, v11
	s_or_b64 exec, exec, s[34:35]
	v_cmp_gt_i32_e32 vcc, s41, v11
	s_and_saveexec_b64 s[34:35], vcc
	s_cbranch_execz .LBB7_2
.LBB7_18:
	s_and_b64 vcc, exec, s[0:1]
	s_cbranch_vccnz .LBB7_25
; %bb.19:
	v_mov_b32_e32 v6, 0
	s_andn2_b64 vcc, exec, s[30:31]
	v_mov_b32_e32 v4, 0
	v_mov_b32_e32 v8, 0
	s_cbranch_vccnz .LBB7_24
; %bb.20:
	s_add_i32 s8, s15, 1
	s_and_b32 s8, s8, 30
	s_add_u32 s36, s33, 0xffffffe8
	s_addc_u32 s37, s40, -1
	v_mov_b32_e32 v8, 0
	v_mov_b32_e32 v4, 0
	;; [unrolled: 1-line block ×4, first 2 shown]
.LBB7_21:                               ; =>This Inner Loop Header: Depth=1
	s_load_dwordx4 s[44:47], s[36:37], 0x1c
	s_load_dwordx2 s[38:39], s[36:37], 0x2c
	s_load_dwordx2 s[42:43], s[36:37], 0xec
	s_load_dwordx4 s[48:51], s[36:37], 0xdc
	s_add_u32 s36, s36, 24
	s_waitcnt lgkmcnt(0)
	v_mul_hi_u32 v1, s45, v0
	s_addc_u32 s37, s37, 0
	s_add_i32 s8, s8, -2
	s_cmp_eq_u32 s8, 0
	v_add_u32_e32 v1, v0, v1
	v_lshrrev_b32_e32 v1, s46, v1
	v_mul_lo_u32 v2, v1, s44
	v_mul_hi_u32 v3, s38, v1
	v_sub_u32_e32 v2, v0, v2
	v_add_u32_e32 v0, v1, v3
	v_lshrrev_b32_e32 v0, s39, v0
	v_mul_lo_u32 v7, v0, s47
	v_mul_lo_u32 v3, v2, s48
	v_mul_lo_u32 v5, v2, s49
	v_mul_lo_u32 v2, v2, s50
	v_sub_u32_e32 v1, v1, v7
	v_mul_lo_u32 v7, v1, s51
	v_mul_lo_u32 v9, v1, s42
	;; [unrolled: 1-line block ×3, first 2 shown]
	v_add3_u32 v6, v3, v6, v7
	v_add3_u32 v4, v5, v4, v9
	;; [unrolled: 1-line block ×3, first 2 shown]
	s_cbranch_scc0 .LBB7_21
; %bb.22:
	s_bitcmp1_b32 s15, 0
	s_cselect_b64 s[38:39], -1, 0
	s_and_b64 vcc, exec, s[38:39]
	s_cbranch_vccnz .LBB7_24
; %bb.23:
	s_load_dwordx2 s[38:39], s[36:37], 0x1c
	s_load_dword s8, s[36:37], 0x24
	s_load_dwordx2 s[42:43], s[36:37], 0xdc
	s_waitcnt lgkmcnt(0)
	v_mul_hi_u32 v1, s39, v0
	v_add_u32_e32 v1, v0, v1
	v_lshrrev_b32_e32 v1, s8, v1
	v_mul_lo_u32 v1, v1, s38
	s_load_dword s8, s[36:37], 0xe4
	v_sub_u32_e32 v0, v0, v1
	v_mad_u64_u32 v[6:7], s[36:37], v0, s42, v[6:7]
	v_mad_u64_u32 v[4:5], s[36:37], v0, s43, v[4:5]
	s_waitcnt lgkmcnt(0)
	v_mad_u64_u32 v[8:9], s[36:37], v0, s8, v[8:9]
.LBB7_24:
	s_cbranch_execz .LBB7_26
	s_branch .LBB7_28
.LBB7_25:
                                        ; implicit-def: $vgpr6
                                        ; implicit-def: $vgpr4
                                        ; implicit-def: $vgpr8
.LBB7_26:
	v_mul_hi_u32 v0, s10, v11
	s_andn2_b64 vcc, exec, s[28:29]
	v_add_u32_e32 v0, v11, v0
	v_lshrrev_b32_e32 v0, s11, v0
	v_mul_lo_u32 v1, v0, s9
	v_sub_u32_e32 v1, v11, v1
	v_mul_lo_u32 v6, v1, s24
	v_mul_lo_u32 v4, v1, s25
	v_mul_lo_u32 v8, v1, s26
	s_cbranch_vccnz .LBB7_28
; %bb.27:
	v_mul_hi_u32 v1, s13, v0
	v_add_u32_e32 v1, v0, v1
	v_lshrrev_b32_e32 v1, s14, v1
	v_mul_lo_u32 v1, v1, s12
	v_sub_u32_e32 v0, v0, v1
	v_mad_u64_u32 v[6:7], s[36:37], v0, s27, v[6:7]
	v_mad_u64_u32 v[4:5], s[36:37], v0, s6, v[4:5]
	;; [unrolled: 1-line block ×3, first 2 shown]
.LBB7_28:
	s_andn2_b64 vcc, exec, s[4:5]
	s_cbranch_vccnz .LBB7_31
; %bb.29:
	s_waitcnt lgkmcnt(0)
	global_load_dwordx4 v[0:3], v6, s[20:21]
	v_mov_b32_e32 v7, s21
	v_add_co_u32_e32 v5, vcc, s20, v6
	v_addc_co_u32_e32 v6, vcc, 0, v7, vcc
	v_mov_b32_e32 v9, s3
	v_add_co_u32_e32 v7, vcc, s2, v8
	v_addc_co_u32_e32 v8, vcc, 0, v9, vcc
	v_mov_b32_e32 v9, s23
	v_add_co_u32_e32 v4, vcc, s22, v4
	s_ashr_i32 s19, s18, 31
	v_addc_co_u32_e32 v10, vcc, 0, v9, vcc
	s_ashr_i32 s39, s17, 31
	s_mov_b32 s38, s17
	s_lshl_b64 s[36:37], s[18:19], 3
	v_add_co_u32_e32 v9, vcc, 8, v4
	s_lshl_b64 s[38:39], s[38:39], 4
	v_addc_co_u32_e32 v10, vcc, 0, v10, vcc
	v_mov_b32_e32 v4, s37
	v_mov_b32_e32 v12, s39
	s_mov_b32 s8, s16
.LBB7_30:                               ; =>This Inner Loop Header: Depth=1
	global_load_dwordx2 v[17:18], v[7:8], off
	global_load_dwordx4 v[13:16], v[9:10], off offset:-8
	v_add_co_u32_e32 v7, vcc, s36, v7
	v_addc_co_u32_e32 v8, vcc, v8, v4, vcc
	s_add_i32 s8, s8, -1
	v_add_co_u32_e32 v9, vcc, s38, v9
	v_addc_co_u32_e32 v10, vcc, v10, v12, vcc
	s_cmp_lg_u32 s8, 0
	s_waitcnt vmcnt(0)
	v_fma_f64 v[0:1], v[17:18], v[13:14], v[0:1]
	v_fma_f64 v[2:3], v[17:18], v[15:16], v[2:3]
	global_store_dwordx4 v[5:6], v[0:3], off
	s_cbranch_scc1 .LBB7_30
.LBB7_31:
	v_add_u32_e32 v11, 0x100, v11
	s_or_b64 exec, exec, s[34:35]
	v_cmp_gt_i32_e32 vcc, s41, v11
	s_and_saveexec_b64 s[34:35], vcc
	s_cbranch_execz .LBB7_3
.LBB7_32:
	s_and_b64 vcc, exec, s[0:1]
	s_cbranch_vccnz .LBB7_39
; %bb.33:
	v_mov_b32_e32 v6, 0
	s_andn2_b64 vcc, exec, s[30:31]
	v_mov_b32_e32 v4, 0
	v_mov_b32_e32 v8, 0
	s_cbranch_vccnz .LBB7_38
; %bb.34:
	s_add_i32 s8, s15, 1
	s_and_b32 s8, s8, 30
	s_add_u32 s36, s33, 0xffffffe8
	s_addc_u32 s37, s40, -1
	v_mov_b32_e32 v8, 0
	v_mov_b32_e32 v4, 0
	;; [unrolled: 1-line block ×4, first 2 shown]
.LBB7_35:                               ; =>This Inner Loop Header: Depth=1
	s_load_dwordx4 s[44:47], s[36:37], 0x1c
	s_load_dwordx2 s[38:39], s[36:37], 0x2c
	s_load_dwordx2 s[42:43], s[36:37], 0xec
	s_load_dwordx4 s[48:51], s[36:37], 0xdc
	s_add_u32 s36, s36, 24
	s_waitcnt lgkmcnt(0)
	v_mul_hi_u32 v1, s45, v0
	s_addc_u32 s37, s37, 0
	s_add_i32 s8, s8, -2
	s_cmp_eq_u32 s8, 0
	v_add_u32_e32 v1, v0, v1
	v_lshrrev_b32_e32 v1, s46, v1
	v_mul_lo_u32 v2, v1, s44
	v_mul_hi_u32 v3, s38, v1
	v_sub_u32_e32 v2, v0, v2
	v_add_u32_e32 v0, v1, v3
	v_lshrrev_b32_e32 v0, s39, v0
	v_mul_lo_u32 v7, v0, s47
	v_mul_lo_u32 v3, v2, s48
	;; [unrolled: 1-line block ×4, first 2 shown]
	v_sub_u32_e32 v1, v1, v7
	v_mul_lo_u32 v7, v1, s51
	v_mul_lo_u32 v9, v1, s42
	;; [unrolled: 1-line block ×3, first 2 shown]
	v_add3_u32 v6, v3, v6, v7
	v_add3_u32 v4, v5, v4, v9
	;; [unrolled: 1-line block ×3, first 2 shown]
	s_cbranch_scc0 .LBB7_35
; %bb.36:
	s_bitcmp1_b32 s15, 0
	s_cselect_b64 s[38:39], -1, 0
	s_and_b64 vcc, exec, s[38:39]
	s_cbranch_vccnz .LBB7_38
; %bb.37:
	s_load_dwordx2 s[38:39], s[36:37], 0x1c
	s_load_dword s8, s[36:37], 0x24
	s_load_dwordx2 s[42:43], s[36:37], 0xdc
	s_waitcnt lgkmcnt(0)
	v_mul_hi_u32 v1, s39, v0
	v_add_u32_e32 v1, v0, v1
	v_lshrrev_b32_e32 v1, s8, v1
	v_mul_lo_u32 v1, v1, s38
	s_load_dword s8, s[36:37], 0xe4
	v_sub_u32_e32 v0, v0, v1
	v_mad_u64_u32 v[6:7], s[36:37], v0, s42, v[6:7]
	v_mad_u64_u32 v[4:5], s[36:37], v0, s43, v[4:5]
	s_waitcnt lgkmcnt(0)
	v_mad_u64_u32 v[8:9], s[36:37], v0, s8, v[8:9]
.LBB7_38:
	s_cbranch_execz .LBB7_40
	s_branch .LBB7_42
.LBB7_39:
                                        ; implicit-def: $vgpr6
                                        ; implicit-def: $vgpr4
                                        ; implicit-def: $vgpr8
.LBB7_40:
	v_mul_hi_u32 v0, s10, v11
	s_andn2_b64 vcc, exec, s[28:29]
	v_add_u32_e32 v0, v11, v0
	v_lshrrev_b32_e32 v0, s11, v0
	v_mul_lo_u32 v1, v0, s9
	v_sub_u32_e32 v1, v11, v1
	v_mul_lo_u32 v6, v1, s24
	v_mul_lo_u32 v4, v1, s25
	;; [unrolled: 1-line block ×3, first 2 shown]
	s_cbranch_vccnz .LBB7_42
; %bb.41:
	v_mul_hi_u32 v1, s13, v0
	v_add_u32_e32 v1, v0, v1
	v_lshrrev_b32_e32 v1, s14, v1
	v_mul_lo_u32 v1, v1, s12
	v_sub_u32_e32 v0, v0, v1
	v_mad_u64_u32 v[6:7], s[36:37], v0, s27, v[6:7]
	v_mad_u64_u32 v[4:5], s[36:37], v0, s6, v[4:5]
	;; [unrolled: 1-line block ×3, first 2 shown]
.LBB7_42:
	s_andn2_b64 vcc, exec, s[4:5]
	s_cbranch_vccnz .LBB7_45
; %bb.43:
	s_waitcnt lgkmcnt(0)
	global_load_dwordx4 v[0:3], v6, s[20:21]
	v_mov_b32_e32 v7, s21
	v_add_co_u32_e32 v5, vcc, s20, v6
	v_addc_co_u32_e32 v6, vcc, 0, v7, vcc
	v_mov_b32_e32 v9, s3
	v_add_co_u32_e32 v7, vcc, s2, v8
	v_addc_co_u32_e32 v8, vcc, 0, v9, vcc
	v_mov_b32_e32 v9, s23
	v_add_co_u32_e32 v4, vcc, s22, v4
	s_ashr_i32 s19, s18, 31
	v_addc_co_u32_e32 v10, vcc, 0, v9, vcc
	s_ashr_i32 s39, s17, 31
	s_mov_b32 s38, s17
	s_lshl_b64 s[36:37], s[18:19], 3
	v_add_co_u32_e32 v9, vcc, 8, v4
	s_lshl_b64 s[38:39], s[38:39], 4
	v_addc_co_u32_e32 v10, vcc, 0, v10, vcc
	v_mov_b32_e32 v4, s37
	v_mov_b32_e32 v12, s39
	s_mov_b32 s8, s16
.LBB7_44:                               ; =>This Inner Loop Header: Depth=1
	global_load_dwordx2 v[17:18], v[7:8], off
	global_load_dwordx4 v[13:16], v[9:10], off offset:-8
	v_add_co_u32_e32 v7, vcc, s36, v7
	v_addc_co_u32_e32 v8, vcc, v8, v4, vcc
	s_add_i32 s8, s8, -1
	v_add_co_u32_e32 v9, vcc, s38, v9
	v_addc_co_u32_e32 v10, vcc, v10, v12, vcc
	s_cmp_lg_u32 s8, 0
	s_waitcnt vmcnt(0)
	v_fma_f64 v[0:1], v[17:18], v[13:14], v[0:1]
	v_fma_f64 v[2:3], v[17:18], v[15:16], v[2:3]
	global_store_dwordx4 v[5:6], v[0:3], off
	s_cbranch_scc1 .LBB7_44
.LBB7_45:
	v_add_u32_e32 v11, 0x100, v11
	s_or_b64 exec, exec, s[34:35]
	v_cmp_gt_i32_e32 vcc, s41, v11
	s_and_saveexec_b64 s[34:35], vcc
	s_cbranch_execz .LBB7_59
.LBB7_46:
	s_and_b64 vcc, exec, s[0:1]
	s_cbranch_vccnz .LBB7_53
; %bb.47:
	v_mov_b32_e32 v6, 0
	s_andn2_b64 vcc, exec, s[30:31]
	v_mov_b32_e32 v4, 0
	v_mov_b32_e32 v8, 0
	s_cbranch_vccnz .LBB7_52
; %bb.48:
	s_add_i32 s0, s15, 1
	s_and_b32 s8, s0, 30
	s_add_u32 s0, s33, 0xffffffe8
	s_addc_u32 s1, s40, -1
	v_mov_b32_e32 v8, 0
	v_mov_b32_e32 v4, 0
	;; [unrolled: 1-line block ×4, first 2 shown]
.LBB7_49:                               ; =>This Inner Loop Header: Depth=1
	s_load_dwordx4 s[36:39], s[0:1], 0x1c
	s_load_dwordx2 s[30:31], s[0:1], 0x2c
	s_load_dwordx2 s[34:35], s[0:1], 0xec
	s_load_dwordx4 s[40:43], s[0:1], 0xdc
	s_add_u32 s0, s0, 24
	s_waitcnt lgkmcnt(0)
	v_mul_hi_u32 v1, s37, v0
	s_addc_u32 s1, s1, 0
	s_add_i32 s8, s8, -2
	s_cmp_eq_u32 s8, 0
	v_add_u32_e32 v1, v0, v1
	v_lshrrev_b32_e32 v1, s38, v1
	v_mul_lo_u32 v2, v1, s36
	v_mul_hi_u32 v3, s30, v1
	v_sub_u32_e32 v2, v0, v2
	v_add_u32_e32 v0, v1, v3
	v_lshrrev_b32_e32 v0, s31, v0
	v_mul_lo_u32 v7, v0, s39
	v_mul_lo_u32 v3, v2, s40
	;; [unrolled: 1-line block ×4, first 2 shown]
	v_sub_u32_e32 v1, v1, v7
	v_mul_lo_u32 v7, v1, s43
	v_mul_lo_u32 v9, v1, s34
	;; [unrolled: 1-line block ×3, first 2 shown]
	v_add3_u32 v6, v3, v6, v7
	v_add3_u32 v4, v5, v4, v9
	v_add3_u32 v8, v2, v8, v1
	s_cbranch_scc0 .LBB7_49
; %bb.50:
	s_bitcmp1_b32 s15, 0
	s_cselect_b64 s[30:31], -1, 0
	s_and_b64 vcc, exec, s[30:31]
	s_cbranch_vccnz .LBB7_52
; %bb.51:
	s_load_dwordx2 s[30:31], s[0:1], 0x1c
	s_load_dword s8, s[0:1], 0x24
	s_load_dwordx2 s[34:35], s[0:1], 0xdc
	s_waitcnt lgkmcnt(0)
	v_mul_hi_u32 v1, s31, v0
	v_add_u32_e32 v1, v0, v1
	v_lshrrev_b32_e32 v1, s8, v1
	v_mul_lo_u32 v1, v1, s30
	s_load_dword s8, s[0:1], 0xe4
	v_sub_u32_e32 v0, v0, v1
	v_mad_u64_u32 v[6:7], s[0:1], v0, s34, v[6:7]
	v_mad_u64_u32 v[4:5], s[0:1], v0, s35, v[4:5]
	s_waitcnt lgkmcnt(0)
	v_mad_u64_u32 v[8:9], s[0:1], v0, s8, v[8:9]
.LBB7_52:
	s_cbranch_execz .LBB7_54
	s_branch .LBB7_56
.LBB7_53:
                                        ; implicit-def: $vgpr6
                                        ; implicit-def: $vgpr4
                                        ; implicit-def: $vgpr8
.LBB7_54:
	v_mul_hi_u32 v0, s10, v11
	s_andn2_b64 vcc, exec, s[28:29]
	v_add_u32_e32 v0, v11, v0
	v_lshrrev_b32_e32 v0, s11, v0
	v_mul_lo_u32 v1, v0, s9
	v_sub_u32_e32 v1, v11, v1
	v_mul_lo_u32 v6, v1, s24
	v_mul_lo_u32 v4, v1, s25
	;; [unrolled: 1-line block ×3, first 2 shown]
	s_cbranch_vccnz .LBB7_56
; %bb.55:
	v_mul_hi_u32 v1, s13, v0
	v_add_u32_e32 v1, v0, v1
	v_lshrrev_b32_e32 v1, s14, v1
	v_mul_lo_u32 v1, v1, s12
	v_sub_u32_e32 v0, v0, v1
	v_mad_u64_u32 v[6:7], s[0:1], v0, s27, v[6:7]
	v_mad_u64_u32 v[4:5], s[0:1], v0, s6, v[4:5]
	;; [unrolled: 1-line block ×3, first 2 shown]
.LBB7_56:
	s_andn2_b64 vcc, exec, s[4:5]
	s_cbranch_vccnz .LBB7_59
; %bb.57:
	s_waitcnt lgkmcnt(0)
	global_load_dwordx4 v[0:3], v6, s[20:21]
	v_mov_b32_e32 v7, s21
	v_add_co_u32_e32 v5, vcc, s20, v6
	v_addc_co_u32_e32 v6, vcc, 0, v7, vcc
	v_mov_b32_e32 v9, s3
	v_add_co_u32_e32 v7, vcc, s2, v8
	v_addc_co_u32_e32 v8, vcc, 0, v9, vcc
	v_mov_b32_e32 v9, s23
	v_add_co_u32_e32 v4, vcc, s22, v4
	s_ashr_i32 s19, s18, 31
	v_addc_co_u32_e32 v10, vcc, 0, v9, vcc
	s_ashr_i32 s3, s17, 31
	s_mov_b32 s2, s17
	s_lshl_b64 s[0:1], s[18:19], 3
	v_add_co_u32_e32 v9, vcc, 8, v4
	s_lshl_b64 s[2:3], s[2:3], 4
	v_addc_co_u32_e32 v10, vcc, 0, v10, vcc
	v_mov_b32_e32 v4, s1
	v_mov_b32_e32 v11, s3
.LBB7_58:                               ; =>This Inner Loop Header: Depth=1
	global_load_dwordx2 v[16:17], v[7:8], off
	global_load_dwordx4 v[12:15], v[9:10], off offset:-8
	v_add_co_u32_e32 v7, vcc, s0, v7
	v_addc_co_u32_e32 v8, vcc, v8, v4, vcc
	s_add_i32 s16, s16, -1
	v_add_co_u32_e32 v9, vcc, s2, v9
	v_addc_co_u32_e32 v10, vcc, v10, v11, vcc
	s_cmp_lg_u32 s16, 0
	s_waitcnt vmcnt(0)
	v_fma_f64 v[0:1], v[16:17], v[12:13], v[0:1]
	v_fma_f64 v[2:3], v[16:17], v[14:15], v[2:3]
	global_store_dwordx4 v[5:6], v[0:3], off
	s_cbranch_scc1 .LBB7_58
.LBB7_59:
	s_endpgm
	.section	.rodata,"a",@progbits
	.p2align	6, 0x0
	.amdhsa_kernel _ZN2at6native12_GLOBAL__N_116_elemwise_kernelILi256ELi4EZNS1_43_compute_linear_combination_internal_kernelIN3c107complexIdEEEEvRNS_14TensorIteratorEiiiEUliE_EEviT1_
		.amdhsa_group_segment_fixed_size 0
		.amdhsa_private_segment_fixed_size 0
		.amdhsa_kernarg_size 440
		.amdhsa_user_sgpr_count 6
		.amdhsa_user_sgpr_private_segment_buffer 1
		.amdhsa_user_sgpr_dispatch_ptr 0
		.amdhsa_user_sgpr_queue_ptr 0
		.amdhsa_user_sgpr_kernarg_segment_ptr 1
		.amdhsa_user_sgpr_dispatch_id 0
		.amdhsa_user_sgpr_flat_scratch_init 0
		.amdhsa_user_sgpr_private_segment_size 0
		.amdhsa_uses_dynamic_stack 0
		.amdhsa_system_sgpr_private_segment_wavefront_offset 0
		.amdhsa_system_sgpr_workgroup_id_x 1
		.amdhsa_system_sgpr_workgroup_id_y 0
		.amdhsa_system_sgpr_workgroup_id_z 0
		.amdhsa_system_sgpr_workgroup_info 0
		.amdhsa_system_vgpr_workitem_id 0
		.amdhsa_next_free_vgpr 19
		.amdhsa_next_free_sgpr 52
		.amdhsa_reserve_vcc 1
		.amdhsa_reserve_flat_scratch 0
		.amdhsa_float_round_mode_32 0
		.amdhsa_float_round_mode_16_64 0
		.amdhsa_float_denorm_mode_32 3
		.amdhsa_float_denorm_mode_16_64 3
		.amdhsa_dx10_clamp 1
		.amdhsa_ieee_mode 1
		.amdhsa_fp16_overflow 0
		.amdhsa_exception_fp_ieee_invalid_op 0
		.amdhsa_exception_fp_denorm_src 0
		.amdhsa_exception_fp_ieee_div_zero 0
		.amdhsa_exception_fp_ieee_overflow 0
		.amdhsa_exception_fp_ieee_underflow 0
		.amdhsa_exception_fp_ieee_inexact 0
		.amdhsa_exception_int_div_zero 0
	.end_amdhsa_kernel
	.section	.text._ZN2at6native12_GLOBAL__N_116_elemwise_kernelILi256ELi4EZNS1_43_compute_linear_combination_internal_kernelIN3c107complexIdEEEEvRNS_14TensorIteratorEiiiEUliE_EEviT1_,"axG",@progbits,_ZN2at6native12_GLOBAL__N_116_elemwise_kernelILi256ELi4EZNS1_43_compute_linear_combination_internal_kernelIN3c107complexIdEEEEvRNS_14TensorIteratorEiiiEUliE_EEviT1_,comdat
.Lfunc_end7:
	.size	_ZN2at6native12_GLOBAL__N_116_elemwise_kernelILi256ELi4EZNS1_43_compute_linear_combination_internal_kernelIN3c107complexIdEEEEvRNS_14TensorIteratorEiiiEUliE_EEviT1_, .Lfunc_end7-_ZN2at6native12_GLOBAL__N_116_elemwise_kernelILi256ELi4EZNS1_43_compute_linear_combination_internal_kernelIN3c107complexIdEEEEvRNS_14TensorIteratorEiiiEUliE_EEviT1_
                                        ; -- End function
	.set _ZN2at6native12_GLOBAL__N_116_elemwise_kernelILi256ELi4EZNS1_43_compute_linear_combination_internal_kernelIN3c107complexIdEEEEvRNS_14TensorIteratorEiiiEUliE_EEviT1_.num_vgpr, 19
	.set _ZN2at6native12_GLOBAL__N_116_elemwise_kernelILi256ELi4EZNS1_43_compute_linear_combination_internal_kernelIN3c107complexIdEEEEvRNS_14TensorIteratorEiiiEUliE_EEviT1_.num_agpr, 0
	.set _ZN2at6native12_GLOBAL__N_116_elemwise_kernelILi256ELi4EZNS1_43_compute_linear_combination_internal_kernelIN3c107complexIdEEEEvRNS_14TensorIteratorEiiiEUliE_EEviT1_.numbered_sgpr, 52
	.set _ZN2at6native12_GLOBAL__N_116_elemwise_kernelILi256ELi4EZNS1_43_compute_linear_combination_internal_kernelIN3c107complexIdEEEEvRNS_14TensorIteratorEiiiEUliE_EEviT1_.num_named_barrier, 0
	.set _ZN2at6native12_GLOBAL__N_116_elemwise_kernelILi256ELi4EZNS1_43_compute_linear_combination_internal_kernelIN3c107complexIdEEEEvRNS_14TensorIteratorEiiiEUliE_EEviT1_.private_seg_size, 0
	.set _ZN2at6native12_GLOBAL__N_116_elemwise_kernelILi256ELi4EZNS1_43_compute_linear_combination_internal_kernelIN3c107complexIdEEEEvRNS_14TensorIteratorEiiiEUliE_EEviT1_.uses_vcc, 1
	.set _ZN2at6native12_GLOBAL__N_116_elemwise_kernelILi256ELi4EZNS1_43_compute_linear_combination_internal_kernelIN3c107complexIdEEEEvRNS_14TensorIteratorEiiiEUliE_EEviT1_.uses_flat_scratch, 0
	.set _ZN2at6native12_GLOBAL__N_116_elemwise_kernelILi256ELi4EZNS1_43_compute_linear_combination_internal_kernelIN3c107complexIdEEEEvRNS_14TensorIteratorEiiiEUliE_EEviT1_.has_dyn_sized_stack, 0
	.set _ZN2at6native12_GLOBAL__N_116_elemwise_kernelILi256ELi4EZNS1_43_compute_linear_combination_internal_kernelIN3c107complexIdEEEEvRNS_14TensorIteratorEiiiEUliE_EEviT1_.has_recursion, 0
	.set _ZN2at6native12_GLOBAL__N_116_elemwise_kernelILi256ELi4EZNS1_43_compute_linear_combination_internal_kernelIN3c107complexIdEEEEvRNS_14TensorIteratorEiiiEUliE_EEviT1_.has_indirect_call, 0
	.section	.AMDGPU.csdata,"",@progbits
; Kernel info:
; codeLenInByte = 2856
; TotalNumSgprs: 56
; NumVgprs: 19
; ScratchSize: 0
; MemoryBound: 0
; FloatMode: 240
; IeeeMode: 1
; LDSByteSize: 0 bytes/workgroup (compile time only)
; SGPRBlocks: 6
; VGPRBlocks: 4
; NumSGPRsForWavesPerEU: 56
; NumVGPRsForWavesPerEU: 19
; Occupancy: 10
; WaveLimiterHint : 1
; COMPUTE_PGM_RSRC2:SCRATCH_EN: 0
; COMPUTE_PGM_RSRC2:USER_SGPR: 6
; COMPUTE_PGM_RSRC2:TRAP_HANDLER: 0
; COMPUTE_PGM_RSRC2:TGID_X_EN: 1
; COMPUTE_PGM_RSRC2:TGID_Y_EN: 0
; COMPUTE_PGM_RSRC2:TGID_Z_EN: 0
; COMPUTE_PGM_RSRC2:TIDIG_COMP_CNT: 0
	.section	.text._ZN2at6native12_GLOBAL__N_116_elemwise_kernelILi256ELi4EZNS1_43_compute_linear_combination_internal_kernelIN3c107complexIfEEEEvRNS_14TensorIteratorEiiiEUliE_EEviT1_,"axG",@progbits,_ZN2at6native12_GLOBAL__N_116_elemwise_kernelILi256ELi4EZNS1_43_compute_linear_combination_internal_kernelIN3c107complexIfEEEEvRNS_14TensorIteratorEiiiEUliE_EEviT1_,comdat
	.globl	_ZN2at6native12_GLOBAL__N_116_elemwise_kernelILi256ELi4EZNS1_43_compute_linear_combination_internal_kernelIN3c107complexIfEEEEvRNS_14TensorIteratorEiiiEUliE_EEviT1_ ; -- Begin function _ZN2at6native12_GLOBAL__N_116_elemwise_kernelILi256ELi4EZNS1_43_compute_linear_combination_internal_kernelIN3c107complexIfEEEEvRNS_14TensorIteratorEiiiEUliE_EEviT1_
	.p2align	8
	.type	_ZN2at6native12_GLOBAL__N_116_elemwise_kernelILi256ELi4EZNS1_43_compute_linear_combination_internal_kernelIN3c107complexIfEEEEvRNS_14TensorIteratorEiiiEUliE_EEviT1_,@function
_ZN2at6native12_GLOBAL__N_116_elemwise_kernelILi256ELi4EZNS1_43_compute_linear_combination_internal_kernelIN3c107complexIfEEEEvRNS_14TensorIteratorEiiiEUliE_EEviT1_: ; @_ZN2at6native12_GLOBAL__N_116_elemwise_kernelILi256ELi4EZNS1_43_compute_linear_combination_internal_kernelIN3c107complexIfEEEEvRNS_14TensorIteratorEiiiEUliE_EEviT1_
; %bb.0:
	s_load_dword s41, s[4:5], 0x0
	s_load_dwordx8 s[8:15], s[4:5], 0x8
	v_lshl_or_b32 v9, s6, 10, v0
	s_load_dwordx4 s[24:27], s[4:5], 0xcc
	s_load_dwordx2 s[6:7], s[4:5], 0xdc
	s_load_dwordx4 s[16:19], s[4:5], 0x1a8
	s_add_u32 s33, s4, 8
	s_addc_u32 s40, s5, 0
	s_waitcnt lgkmcnt(0)
	v_sub_co_u32_e64 v0, s[0:1], s8, 1
	s_xor_b64 s[30:31], s[0:1], -1
	v_readfirstlane_b32 s0, v0
	s_load_dwordx2 s[2:3], s[4:5], 0x1a0
	s_load_dwordx4 s[20:23], s[4:5], 0x190
	s_min_u32 s15, s0, 15
	s_cmp_gt_u32 s8, 1
	v_cmp_lt_u32_e64 s[0:1], 1, v0
	s_cselect_b64 s[28:29], -1, 0
	s_cmp_gt_i32 s16, 0
	v_cndmask_b32_e64 v0, 0, 1, s[0:1]
	s_mov_b64 s[36:37], -1
	s_cselect_b64 s[4:5], -1, 0
	v_cmp_gt_i32_e32 vcc, s41, v9
	v_cmp_ne_u32_e64 s[0:1], 1, v0
	s_and_saveexec_b64 s[34:35], vcc
	s_cbranch_execnz .LBB8_4
; %bb.1:
	s_or_b64 exec, exec, s[34:35]
	v_cmp_gt_i32_e32 vcc, s41, v9
	s_and_saveexec_b64 s[34:35], vcc
	s_cbranch_execnz .LBB8_18
.LBB8_2:
	s_or_b64 exec, exec, s[34:35]
	v_cmp_gt_i32_e32 vcc, s41, v9
	s_and_saveexec_b64 s[34:35], vcc
	s_cbranch_execnz .LBB8_32
.LBB8_3:
	s_or_b64 exec, exec, s[34:35]
	v_cmp_gt_i32_e32 vcc, s41, v9
	s_and_saveexec_b64 s[34:35], vcc
	s_cbranch_execnz .LBB8_46
	s_branch .LBB8_59
.LBB8_4:
	s_and_b64 vcc, exec, s[0:1]
                                        ; implicit-def: $vgpr2
                                        ; implicit-def: $vgpr4
                                        ; implicit-def: $vgpr0
	s_cbranch_vccnz .LBB8_11
; %bb.5:
	v_mov_b32_e32 v2, 0
	s_andn2_b64 vcc, exec, s[30:31]
	v_mov_b32_e32 v4, 0
	v_mov_b32_e32 v0, 0
	s_cbranch_vccnz .LBB8_10
; %bb.6:
	s_add_i32 s8, s15, 1
	s_and_b32 s8, s8, 30
	s_add_u32 s36, s33, 0xffffffe8
	s_addc_u32 s37, s40, -1
	v_mov_b32_e32 v0, 0
	v_mov_b32_e32 v4, 0
	;; [unrolled: 1-line block ×4, first 2 shown]
.LBB8_7:                                ; =>This Inner Loop Header: Depth=1
	s_load_dwordx4 s[44:47], s[36:37], 0x1c
	s_load_dwordx2 s[38:39], s[36:37], 0x2c
	s_load_dwordx2 s[42:43], s[36:37], 0xec
	s_load_dwordx4 s[48:51], s[36:37], 0xdc
	s_add_u32 s36, s36, 24
	s_waitcnt lgkmcnt(0)
	v_mul_hi_u32 v3, s45, v1
	s_addc_u32 s37, s37, 0
	s_add_i32 s8, s8, -2
	s_cmp_lg_u32 s8, 0
	v_add_u32_e32 v3, v1, v3
	v_lshrrev_b32_e32 v3, s46, v3
	v_mul_lo_u32 v5, v3, s44
	v_mul_hi_u32 v6, s38, v3
	v_sub_u32_e32 v5, v1, v5
	v_add_u32_e32 v1, v3, v6
	v_lshrrev_b32_e32 v1, s39, v1
	v_mul_lo_u32 v8, v1, s47
	v_mul_lo_u32 v6, v5, s48
	;; [unrolled: 1-line block ×4, first 2 shown]
	v_sub_u32_e32 v3, v3, v8
	v_mul_lo_u32 v8, v3, s51
	v_mul_lo_u32 v10, v3, s42
	;; [unrolled: 1-line block ×3, first 2 shown]
	v_add3_u32 v2, v6, v2, v8
	v_add3_u32 v4, v7, v4, v10
	;; [unrolled: 1-line block ×3, first 2 shown]
	s_cbranch_scc1 .LBB8_7
; %bb.8:
	s_bitcmp1_b32 s15, 0
	s_cselect_b64 s[38:39], -1, 0
	s_and_b64 vcc, exec, s[38:39]
	s_cbranch_vccnz .LBB8_10
; %bb.9:
	s_load_dwordx2 s[38:39], s[36:37], 0x1c
	s_load_dword s8, s[36:37], 0x24
	s_load_dwordx2 s[42:43], s[36:37], 0xdc
	s_waitcnt lgkmcnt(0)
	v_mul_hi_u32 v3, s39, v1
	v_add_u32_e32 v3, v1, v3
	v_lshrrev_b32_e32 v3, s8, v3
	v_mul_lo_u32 v3, v3, s38
	s_load_dword s8, s[36:37], 0xe4
	v_sub_u32_e32 v1, v1, v3
	v_mad_u64_u32 v[2:3], s[36:37], v1, s42, v[2:3]
	v_mad_u64_u32 v[4:5], s[36:37], v1, s43, v[4:5]
	s_waitcnt lgkmcnt(0)
	v_mad_u64_u32 v[0:1], s[36:37], v1, s8, v[0:1]
.LBB8_10:
	s_mov_b64 s[36:37], 0
.LBB8_11:
	s_andn2_b64 vcc, exec, s[36:37]
	s_cbranch_vccnz .LBB8_14
; %bb.12:
	v_mul_hi_u32 v0, s10, v9
	s_andn2_b64 vcc, exec, s[28:29]
	v_add_u32_e32 v0, v9, v0
	v_lshrrev_b32_e32 v1, s11, v0
	v_mul_lo_u32 v0, v1, s9
	v_sub_u32_e32 v0, v9, v0
	v_mul_lo_u32 v2, v0, s24
	v_mul_lo_u32 v4, v0, s25
	;; [unrolled: 1-line block ×3, first 2 shown]
	s_cbranch_vccnz .LBB8_14
; %bb.13:
	v_mul_hi_u32 v3, s13, v1
	v_add_u32_e32 v3, v1, v3
	v_lshrrev_b32_e32 v3, s14, v3
	v_mul_lo_u32 v3, v3, s12
	v_sub_u32_e32 v1, v1, v3
	v_mad_u64_u32 v[2:3], s[36:37], v1, s27, v[2:3]
	v_mad_u64_u32 v[4:5], s[36:37], v1, s6, v[4:5]
	v_mad_u64_u32 v[0:1], s[36:37], v1, s7, v[0:1]
.LBB8_14:
	s_andn2_b64 vcc, exec, s[4:5]
	s_cbranch_vccnz .LBB8_17
; %bb.15:
	s_waitcnt lgkmcnt(0)
	global_load_dwordx2 v[5:6], v2, s[20:21]
	v_mov_b32_e32 v3, s21
	v_add_co_u32_e32 v1, vcc, s20, v2
	v_addc_co_u32_e32 v2, vcc, 0, v3, vcc
	v_mov_b32_e32 v7, s23
	v_add_co_u32_e32 v3, vcc, s22, v4
	v_addc_co_u32_e32 v4, vcc, 0, v7, vcc
	s_ashr_i32 s19, s18, 31
	s_ashr_i32 s39, s17, 31
	s_mov_b32 s38, s17
	v_mov_b32_e32 v8, s3
	v_add_co_u32_e32 v7, vcc, s2, v0
	s_lshl_b64 s[36:37], s[18:19], 2
	s_lshl_b64 s[38:39], s[38:39], 3
	v_addc_co_u32_e32 v8, vcc, 0, v8, vcc
	v_mov_b32_e32 v0, s37
	v_mov_b32_e32 v10, s39
	s_mov_b32 s8, s16
.LBB8_16:                               ; =>This Inner Loop Header: Depth=1
	global_load_dwordx2 v[11:12], v[3:4], off
	global_load_dword v13, v[7:8], off
	v_add_co_u32_e32 v7, vcc, s36, v7
	v_addc_co_u32_e32 v8, vcc, v8, v0, vcc
	s_add_i32 s8, s8, -1
	v_add_co_u32_e32 v3, vcc, s38, v3
	v_addc_co_u32_e32 v4, vcc, v4, v10, vcc
	s_cmp_lg_u32 s8, 0
	s_waitcnt vmcnt(0)
	v_fmac_f32_e32 v5, v13, v11
	v_fmac_f32_e32 v6, v13, v12
	global_store_dwordx2 v[1:2], v[5:6], off
	s_cbranch_scc1 .LBB8_16
.LBB8_17:
	v_add_u32_e32 v9, 0x100, v9
	s_or_b64 exec, exec, s[34:35]
	v_cmp_gt_i32_e32 vcc, s41, v9
	s_and_saveexec_b64 s[34:35], vcc
	s_cbranch_execz .LBB8_2
.LBB8_18:
	s_and_b64 vcc, exec, s[0:1]
	s_cbranch_vccnz .LBB8_25
; %bb.19:
	v_mov_b32_e32 v2, 0
	s_andn2_b64 vcc, exec, s[30:31]
	v_mov_b32_e32 v4, 0
	v_mov_b32_e32 v0, 0
	s_cbranch_vccnz .LBB8_24
; %bb.20:
	s_add_i32 s8, s15, 1
	s_and_b32 s8, s8, 30
	s_add_u32 s36, s33, 0xffffffe8
	s_addc_u32 s37, s40, -1
	v_mov_b32_e32 v0, 0
	v_mov_b32_e32 v4, 0
	;; [unrolled: 1-line block ×4, first 2 shown]
.LBB8_21:                               ; =>This Inner Loop Header: Depth=1
	s_load_dwordx4 s[44:47], s[36:37], 0x1c
	s_load_dwordx2 s[38:39], s[36:37], 0x2c
	s_load_dwordx2 s[42:43], s[36:37], 0xec
	s_load_dwordx4 s[48:51], s[36:37], 0xdc
	s_add_u32 s36, s36, 24
	s_waitcnt lgkmcnt(0)
	v_mul_hi_u32 v3, s45, v1
	s_addc_u32 s37, s37, 0
	s_add_i32 s8, s8, -2
	s_cmp_eq_u32 s8, 0
	v_add_u32_e32 v3, v1, v3
	v_lshrrev_b32_e32 v3, s46, v3
	v_mul_lo_u32 v5, v3, s44
	v_mul_hi_u32 v6, s38, v3
	v_sub_u32_e32 v5, v1, v5
	v_add_u32_e32 v1, v3, v6
	v_lshrrev_b32_e32 v1, s39, v1
	v_mul_lo_u32 v8, v1, s47
	v_mul_lo_u32 v6, v5, s48
	;; [unrolled: 1-line block ×4, first 2 shown]
	v_sub_u32_e32 v3, v3, v8
	v_mul_lo_u32 v8, v3, s51
	v_mul_lo_u32 v10, v3, s42
	;; [unrolled: 1-line block ×3, first 2 shown]
	v_add3_u32 v2, v6, v2, v8
	v_add3_u32 v4, v7, v4, v10
	;; [unrolled: 1-line block ×3, first 2 shown]
	s_cbranch_scc0 .LBB8_21
; %bb.22:
	s_bitcmp1_b32 s15, 0
	s_cselect_b64 s[38:39], -1, 0
	s_and_b64 vcc, exec, s[38:39]
	s_cbranch_vccnz .LBB8_24
; %bb.23:
	s_load_dwordx2 s[38:39], s[36:37], 0x1c
	s_load_dword s8, s[36:37], 0x24
	s_load_dwordx2 s[42:43], s[36:37], 0xdc
	s_waitcnt lgkmcnt(0)
	v_mul_hi_u32 v3, s39, v1
	v_add_u32_e32 v3, v1, v3
	v_lshrrev_b32_e32 v3, s8, v3
	v_mul_lo_u32 v3, v3, s38
	s_load_dword s8, s[36:37], 0xe4
	v_sub_u32_e32 v1, v1, v3
	v_mad_u64_u32 v[2:3], s[36:37], v1, s42, v[2:3]
	v_mad_u64_u32 v[4:5], s[36:37], v1, s43, v[4:5]
	s_waitcnt lgkmcnt(0)
	v_mad_u64_u32 v[0:1], s[36:37], v1, s8, v[0:1]
.LBB8_24:
	s_cbranch_execz .LBB8_26
	s_branch .LBB8_28
.LBB8_25:
                                        ; implicit-def: $vgpr2
                                        ; implicit-def: $vgpr4
                                        ; implicit-def: $vgpr0
.LBB8_26:
	v_mul_hi_u32 v0, s10, v9
	s_andn2_b64 vcc, exec, s[28:29]
	v_add_u32_e32 v0, v9, v0
	v_lshrrev_b32_e32 v1, s11, v0
	v_mul_lo_u32 v0, v1, s9
	v_sub_u32_e32 v0, v9, v0
	v_mul_lo_u32 v2, v0, s24
	v_mul_lo_u32 v4, v0, s25
	;; [unrolled: 1-line block ×3, first 2 shown]
	s_cbranch_vccnz .LBB8_28
; %bb.27:
	v_mul_hi_u32 v3, s13, v1
	v_add_u32_e32 v3, v1, v3
	v_lshrrev_b32_e32 v3, s14, v3
	v_mul_lo_u32 v3, v3, s12
	v_sub_u32_e32 v1, v1, v3
	v_mad_u64_u32 v[2:3], s[36:37], v1, s27, v[2:3]
	v_mad_u64_u32 v[4:5], s[36:37], v1, s6, v[4:5]
	;; [unrolled: 1-line block ×3, first 2 shown]
.LBB8_28:
	s_andn2_b64 vcc, exec, s[4:5]
	s_cbranch_vccnz .LBB8_31
; %bb.29:
	s_waitcnt lgkmcnt(0)
	global_load_dwordx2 v[5:6], v2, s[20:21]
	v_mov_b32_e32 v3, s21
	v_add_co_u32_e32 v1, vcc, s20, v2
	v_addc_co_u32_e32 v2, vcc, 0, v3, vcc
	v_mov_b32_e32 v7, s23
	v_add_co_u32_e32 v3, vcc, s22, v4
	v_addc_co_u32_e32 v4, vcc, 0, v7, vcc
	s_ashr_i32 s19, s18, 31
	s_ashr_i32 s39, s17, 31
	s_mov_b32 s38, s17
	v_mov_b32_e32 v8, s3
	v_add_co_u32_e32 v7, vcc, s2, v0
	s_lshl_b64 s[36:37], s[18:19], 2
	s_lshl_b64 s[38:39], s[38:39], 3
	v_addc_co_u32_e32 v8, vcc, 0, v8, vcc
	v_mov_b32_e32 v0, s37
	v_mov_b32_e32 v10, s39
	s_mov_b32 s8, s16
.LBB8_30:                               ; =>This Inner Loop Header: Depth=1
	global_load_dwordx2 v[11:12], v[3:4], off
	global_load_dword v13, v[7:8], off
	v_add_co_u32_e32 v7, vcc, s36, v7
	v_addc_co_u32_e32 v8, vcc, v8, v0, vcc
	s_add_i32 s8, s8, -1
	v_add_co_u32_e32 v3, vcc, s38, v3
	v_addc_co_u32_e32 v4, vcc, v4, v10, vcc
	s_cmp_lg_u32 s8, 0
	s_waitcnt vmcnt(0)
	v_fmac_f32_e32 v5, v13, v11
	v_fmac_f32_e32 v6, v13, v12
	global_store_dwordx2 v[1:2], v[5:6], off
	s_cbranch_scc1 .LBB8_30
.LBB8_31:
	v_add_u32_e32 v9, 0x100, v9
	s_or_b64 exec, exec, s[34:35]
	v_cmp_gt_i32_e32 vcc, s41, v9
	s_and_saveexec_b64 s[34:35], vcc
	s_cbranch_execz .LBB8_3
.LBB8_32:
	s_and_b64 vcc, exec, s[0:1]
	s_cbranch_vccnz .LBB8_39
; %bb.33:
	v_mov_b32_e32 v2, 0
	s_andn2_b64 vcc, exec, s[30:31]
	v_mov_b32_e32 v4, 0
	v_mov_b32_e32 v0, 0
	s_cbranch_vccnz .LBB8_38
; %bb.34:
	s_add_i32 s8, s15, 1
	s_and_b32 s8, s8, 30
	s_add_u32 s36, s33, 0xffffffe8
	s_addc_u32 s37, s40, -1
	v_mov_b32_e32 v0, 0
	v_mov_b32_e32 v4, 0
	;; [unrolled: 1-line block ×4, first 2 shown]
.LBB8_35:                               ; =>This Inner Loop Header: Depth=1
	s_load_dwordx4 s[44:47], s[36:37], 0x1c
	s_load_dwordx2 s[38:39], s[36:37], 0x2c
	s_load_dwordx2 s[42:43], s[36:37], 0xec
	s_load_dwordx4 s[48:51], s[36:37], 0xdc
	s_add_u32 s36, s36, 24
	s_waitcnt lgkmcnt(0)
	v_mul_hi_u32 v3, s45, v1
	s_addc_u32 s37, s37, 0
	s_add_i32 s8, s8, -2
	s_cmp_eq_u32 s8, 0
	v_add_u32_e32 v3, v1, v3
	v_lshrrev_b32_e32 v3, s46, v3
	v_mul_lo_u32 v5, v3, s44
	v_mul_hi_u32 v6, s38, v3
	v_sub_u32_e32 v5, v1, v5
	v_add_u32_e32 v1, v3, v6
	v_lshrrev_b32_e32 v1, s39, v1
	v_mul_lo_u32 v8, v1, s47
	v_mul_lo_u32 v6, v5, s48
	;; [unrolled: 1-line block ×4, first 2 shown]
	v_sub_u32_e32 v3, v3, v8
	v_mul_lo_u32 v8, v3, s51
	v_mul_lo_u32 v10, v3, s42
	;; [unrolled: 1-line block ×3, first 2 shown]
	v_add3_u32 v2, v6, v2, v8
	v_add3_u32 v4, v7, v4, v10
	;; [unrolled: 1-line block ×3, first 2 shown]
	s_cbranch_scc0 .LBB8_35
; %bb.36:
	s_bitcmp1_b32 s15, 0
	s_cselect_b64 s[38:39], -1, 0
	s_and_b64 vcc, exec, s[38:39]
	s_cbranch_vccnz .LBB8_38
; %bb.37:
	s_load_dwordx2 s[38:39], s[36:37], 0x1c
	s_load_dword s8, s[36:37], 0x24
	s_load_dwordx2 s[42:43], s[36:37], 0xdc
	s_waitcnt lgkmcnt(0)
	v_mul_hi_u32 v3, s39, v1
	v_add_u32_e32 v3, v1, v3
	v_lshrrev_b32_e32 v3, s8, v3
	v_mul_lo_u32 v3, v3, s38
	s_load_dword s8, s[36:37], 0xe4
	v_sub_u32_e32 v1, v1, v3
	v_mad_u64_u32 v[2:3], s[36:37], v1, s42, v[2:3]
	v_mad_u64_u32 v[4:5], s[36:37], v1, s43, v[4:5]
	s_waitcnt lgkmcnt(0)
	v_mad_u64_u32 v[0:1], s[36:37], v1, s8, v[0:1]
.LBB8_38:
	s_cbranch_execz .LBB8_40
	s_branch .LBB8_42
.LBB8_39:
                                        ; implicit-def: $vgpr2
                                        ; implicit-def: $vgpr4
                                        ; implicit-def: $vgpr0
.LBB8_40:
	v_mul_hi_u32 v0, s10, v9
	s_andn2_b64 vcc, exec, s[28:29]
	v_add_u32_e32 v0, v9, v0
	v_lshrrev_b32_e32 v1, s11, v0
	v_mul_lo_u32 v0, v1, s9
	v_sub_u32_e32 v0, v9, v0
	v_mul_lo_u32 v2, v0, s24
	v_mul_lo_u32 v4, v0, s25
	;; [unrolled: 1-line block ×3, first 2 shown]
	s_cbranch_vccnz .LBB8_42
; %bb.41:
	v_mul_hi_u32 v3, s13, v1
	v_add_u32_e32 v3, v1, v3
	v_lshrrev_b32_e32 v3, s14, v3
	v_mul_lo_u32 v3, v3, s12
	v_sub_u32_e32 v1, v1, v3
	v_mad_u64_u32 v[2:3], s[36:37], v1, s27, v[2:3]
	v_mad_u64_u32 v[4:5], s[36:37], v1, s6, v[4:5]
	v_mad_u64_u32 v[0:1], s[36:37], v1, s7, v[0:1]
.LBB8_42:
	s_andn2_b64 vcc, exec, s[4:5]
	s_cbranch_vccnz .LBB8_45
; %bb.43:
	s_waitcnt lgkmcnt(0)
	global_load_dwordx2 v[5:6], v2, s[20:21]
	v_mov_b32_e32 v3, s21
	v_add_co_u32_e32 v1, vcc, s20, v2
	v_addc_co_u32_e32 v2, vcc, 0, v3, vcc
	v_mov_b32_e32 v7, s23
	v_add_co_u32_e32 v3, vcc, s22, v4
	v_addc_co_u32_e32 v4, vcc, 0, v7, vcc
	s_ashr_i32 s19, s18, 31
	s_ashr_i32 s39, s17, 31
	s_mov_b32 s38, s17
	v_mov_b32_e32 v8, s3
	v_add_co_u32_e32 v7, vcc, s2, v0
	s_lshl_b64 s[36:37], s[18:19], 2
	s_lshl_b64 s[38:39], s[38:39], 3
	v_addc_co_u32_e32 v8, vcc, 0, v8, vcc
	v_mov_b32_e32 v0, s37
	v_mov_b32_e32 v10, s39
	s_mov_b32 s8, s16
.LBB8_44:                               ; =>This Inner Loop Header: Depth=1
	global_load_dwordx2 v[11:12], v[3:4], off
	global_load_dword v13, v[7:8], off
	v_add_co_u32_e32 v7, vcc, s36, v7
	v_addc_co_u32_e32 v8, vcc, v8, v0, vcc
	s_add_i32 s8, s8, -1
	v_add_co_u32_e32 v3, vcc, s38, v3
	v_addc_co_u32_e32 v4, vcc, v4, v10, vcc
	s_cmp_lg_u32 s8, 0
	s_waitcnt vmcnt(0)
	v_fmac_f32_e32 v5, v13, v11
	v_fmac_f32_e32 v6, v13, v12
	global_store_dwordx2 v[1:2], v[5:6], off
	s_cbranch_scc1 .LBB8_44
.LBB8_45:
	v_add_u32_e32 v9, 0x100, v9
	s_or_b64 exec, exec, s[34:35]
	v_cmp_gt_i32_e32 vcc, s41, v9
	s_and_saveexec_b64 s[34:35], vcc
	s_cbranch_execz .LBB8_59
.LBB8_46:
	s_and_b64 vcc, exec, s[0:1]
	s_cbranch_vccnz .LBB8_53
; %bb.47:
	v_mov_b32_e32 v2, 0
	s_andn2_b64 vcc, exec, s[30:31]
	v_mov_b32_e32 v4, 0
	v_mov_b32_e32 v0, 0
	s_cbranch_vccnz .LBB8_52
; %bb.48:
	s_add_i32 s0, s15, 1
	s_and_b32 s8, s0, 30
	s_add_u32 s0, s33, 0xffffffe8
	s_addc_u32 s1, s40, -1
	v_mov_b32_e32 v0, 0
	v_mov_b32_e32 v4, 0
	;; [unrolled: 1-line block ×4, first 2 shown]
.LBB8_49:                               ; =>This Inner Loop Header: Depth=1
	s_load_dwordx4 s[36:39], s[0:1], 0x1c
	s_load_dwordx2 s[30:31], s[0:1], 0x2c
	s_load_dwordx2 s[34:35], s[0:1], 0xec
	s_load_dwordx4 s[40:43], s[0:1], 0xdc
	s_add_u32 s0, s0, 24
	s_waitcnt lgkmcnt(0)
	v_mul_hi_u32 v3, s37, v1
	s_addc_u32 s1, s1, 0
	s_add_i32 s8, s8, -2
	s_cmp_eq_u32 s8, 0
	v_add_u32_e32 v3, v1, v3
	v_lshrrev_b32_e32 v3, s38, v3
	v_mul_lo_u32 v5, v3, s36
	v_mul_hi_u32 v6, s30, v3
	v_sub_u32_e32 v5, v1, v5
	v_add_u32_e32 v1, v3, v6
	v_lshrrev_b32_e32 v1, s31, v1
	v_mul_lo_u32 v8, v1, s39
	v_mul_lo_u32 v6, v5, s40
	;; [unrolled: 1-line block ×4, first 2 shown]
	v_sub_u32_e32 v3, v3, v8
	v_mul_lo_u32 v8, v3, s43
	v_mul_lo_u32 v10, v3, s34
	;; [unrolled: 1-line block ×3, first 2 shown]
	v_add3_u32 v2, v6, v2, v8
	v_add3_u32 v4, v7, v4, v10
	;; [unrolled: 1-line block ×3, first 2 shown]
	s_cbranch_scc0 .LBB8_49
; %bb.50:
	s_bitcmp1_b32 s15, 0
	s_cselect_b64 s[30:31], -1, 0
	s_and_b64 vcc, exec, s[30:31]
	s_cbranch_vccnz .LBB8_52
; %bb.51:
	s_load_dwordx2 s[30:31], s[0:1], 0x1c
	s_load_dword s8, s[0:1], 0x24
	s_load_dwordx2 s[34:35], s[0:1], 0xdc
	s_waitcnt lgkmcnt(0)
	v_mul_hi_u32 v3, s31, v1
	v_add_u32_e32 v3, v1, v3
	v_lshrrev_b32_e32 v3, s8, v3
	v_mul_lo_u32 v3, v3, s30
	s_load_dword s8, s[0:1], 0xe4
	v_sub_u32_e32 v1, v1, v3
	v_mad_u64_u32 v[2:3], s[0:1], v1, s34, v[2:3]
	v_mad_u64_u32 v[4:5], s[0:1], v1, s35, v[4:5]
	s_waitcnt lgkmcnt(0)
	v_mad_u64_u32 v[0:1], s[0:1], v1, s8, v[0:1]
.LBB8_52:
	s_cbranch_execz .LBB8_54
	s_branch .LBB8_56
.LBB8_53:
                                        ; implicit-def: $vgpr2
                                        ; implicit-def: $vgpr4
                                        ; implicit-def: $vgpr0
.LBB8_54:
	v_mul_hi_u32 v0, s10, v9
	s_andn2_b64 vcc, exec, s[28:29]
	v_add_u32_e32 v0, v9, v0
	v_lshrrev_b32_e32 v1, s11, v0
	v_mul_lo_u32 v0, v1, s9
	v_sub_u32_e32 v0, v9, v0
	v_mul_lo_u32 v2, v0, s24
	v_mul_lo_u32 v4, v0, s25
	;; [unrolled: 1-line block ×3, first 2 shown]
	s_cbranch_vccnz .LBB8_56
; %bb.55:
	v_mul_hi_u32 v3, s13, v1
	v_add_u32_e32 v3, v1, v3
	v_lshrrev_b32_e32 v3, s14, v3
	v_mul_lo_u32 v3, v3, s12
	v_sub_u32_e32 v1, v1, v3
	v_mad_u64_u32 v[2:3], s[0:1], v1, s27, v[2:3]
	v_mad_u64_u32 v[4:5], s[0:1], v1, s6, v[4:5]
	;; [unrolled: 1-line block ×3, first 2 shown]
.LBB8_56:
	s_andn2_b64 vcc, exec, s[4:5]
	s_cbranch_vccnz .LBB8_59
; %bb.57:
	s_waitcnt lgkmcnt(0)
	global_load_dwordx2 v[5:6], v2, s[20:21]
	v_mov_b32_e32 v3, s21
	v_add_co_u32_e32 v1, vcc, s20, v2
	v_addc_co_u32_e32 v2, vcc, 0, v3, vcc
	v_mov_b32_e32 v7, s23
	v_add_co_u32_e32 v3, vcc, s22, v4
	v_addc_co_u32_e32 v4, vcc, 0, v7, vcc
	v_mov_b32_e32 v8, s3
	v_add_co_u32_e32 v7, vcc, s2, v0
	s_ashr_i32 s19, s18, 31
	s_ashr_i32 s3, s17, 31
	s_mov_b32 s2, s17
	s_lshl_b64 s[0:1], s[18:19], 2
	s_lshl_b64 s[2:3], s[2:3], 3
	v_addc_co_u32_e32 v8, vcc, 0, v8, vcc
	v_mov_b32_e32 v0, s1
	v_mov_b32_e32 v9, s3
.LBB8_58:                               ; =>This Inner Loop Header: Depth=1
	global_load_dwordx2 v[10:11], v[3:4], off
	global_load_dword v12, v[7:8], off
	v_add_co_u32_e32 v7, vcc, s0, v7
	v_addc_co_u32_e32 v8, vcc, v8, v0, vcc
	s_add_i32 s16, s16, -1
	v_add_co_u32_e32 v3, vcc, s2, v3
	v_addc_co_u32_e32 v4, vcc, v4, v9, vcc
	s_cmp_lg_u32 s16, 0
	s_waitcnt vmcnt(0)
	v_fmac_f32_e32 v5, v12, v10
	v_fmac_f32_e32 v6, v12, v11
	global_store_dwordx2 v[1:2], v[5:6], off
	s_cbranch_scc1 .LBB8_58
.LBB8_59:
	s_endpgm
	.section	.rodata,"a",@progbits
	.p2align	6, 0x0
	.amdhsa_kernel _ZN2at6native12_GLOBAL__N_116_elemwise_kernelILi256ELi4EZNS1_43_compute_linear_combination_internal_kernelIN3c107complexIfEEEEvRNS_14TensorIteratorEiiiEUliE_EEviT1_
		.amdhsa_group_segment_fixed_size 0
		.amdhsa_private_segment_fixed_size 0
		.amdhsa_kernarg_size 440
		.amdhsa_user_sgpr_count 6
		.amdhsa_user_sgpr_private_segment_buffer 1
		.amdhsa_user_sgpr_dispatch_ptr 0
		.amdhsa_user_sgpr_queue_ptr 0
		.amdhsa_user_sgpr_kernarg_segment_ptr 1
		.amdhsa_user_sgpr_dispatch_id 0
		.amdhsa_user_sgpr_flat_scratch_init 0
		.amdhsa_user_sgpr_private_segment_size 0
		.amdhsa_uses_dynamic_stack 0
		.amdhsa_system_sgpr_private_segment_wavefront_offset 0
		.amdhsa_system_sgpr_workgroup_id_x 1
		.amdhsa_system_sgpr_workgroup_id_y 0
		.amdhsa_system_sgpr_workgroup_id_z 0
		.amdhsa_system_sgpr_workgroup_info 0
		.amdhsa_system_vgpr_workitem_id 0
		.amdhsa_next_free_vgpr 14
		.amdhsa_next_free_sgpr 52
		.amdhsa_reserve_vcc 1
		.amdhsa_reserve_flat_scratch 0
		.amdhsa_float_round_mode_32 0
		.amdhsa_float_round_mode_16_64 0
		.amdhsa_float_denorm_mode_32 3
		.amdhsa_float_denorm_mode_16_64 3
		.amdhsa_dx10_clamp 1
		.amdhsa_ieee_mode 1
		.amdhsa_fp16_overflow 0
		.amdhsa_exception_fp_ieee_invalid_op 0
		.amdhsa_exception_fp_denorm_src 0
		.amdhsa_exception_fp_ieee_div_zero 0
		.amdhsa_exception_fp_ieee_overflow 0
		.amdhsa_exception_fp_ieee_underflow 0
		.amdhsa_exception_fp_ieee_inexact 0
		.amdhsa_exception_int_div_zero 0
	.end_amdhsa_kernel
	.section	.text._ZN2at6native12_GLOBAL__N_116_elemwise_kernelILi256ELi4EZNS1_43_compute_linear_combination_internal_kernelIN3c107complexIfEEEEvRNS_14TensorIteratorEiiiEUliE_EEviT1_,"axG",@progbits,_ZN2at6native12_GLOBAL__N_116_elemwise_kernelILi256ELi4EZNS1_43_compute_linear_combination_internal_kernelIN3c107complexIfEEEEvRNS_14TensorIteratorEiiiEUliE_EEviT1_,comdat
.Lfunc_end8:
	.size	_ZN2at6native12_GLOBAL__N_116_elemwise_kernelILi256ELi4EZNS1_43_compute_linear_combination_internal_kernelIN3c107complexIfEEEEvRNS_14TensorIteratorEiiiEUliE_EEviT1_, .Lfunc_end8-_ZN2at6native12_GLOBAL__N_116_elemwise_kernelILi256ELi4EZNS1_43_compute_linear_combination_internal_kernelIN3c107complexIfEEEEvRNS_14TensorIteratorEiiiEUliE_EEviT1_
                                        ; -- End function
	.set _ZN2at6native12_GLOBAL__N_116_elemwise_kernelILi256ELi4EZNS1_43_compute_linear_combination_internal_kernelIN3c107complexIfEEEEvRNS_14TensorIteratorEiiiEUliE_EEviT1_.num_vgpr, 14
	.set _ZN2at6native12_GLOBAL__N_116_elemwise_kernelILi256ELi4EZNS1_43_compute_linear_combination_internal_kernelIN3c107complexIfEEEEvRNS_14TensorIteratorEiiiEUliE_EEviT1_.num_agpr, 0
	.set _ZN2at6native12_GLOBAL__N_116_elemwise_kernelILi256ELi4EZNS1_43_compute_linear_combination_internal_kernelIN3c107complexIfEEEEvRNS_14TensorIteratorEiiiEUliE_EEviT1_.numbered_sgpr, 52
	.set _ZN2at6native12_GLOBAL__N_116_elemwise_kernelILi256ELi4EZNS1_43_compute_linear_combination_internal_kernelIN3c107complexIfEEEEvRNS_14TensorIteratorEiiiEUliE_EEviT1_.num_named_barrier, 0
	.set _ZN2at6native12_GLOBAL__N_116_elemwise_kernelILi256ELi4EZNS1_43_compute_linear_combination_internal_kernelIN3c107complexIfEEEEvRNS_14TensorIteratorEiiiEUliE_EEviT1_.private_seg_size, 0
	.set _ZN2at6native12_GLOBAL__N_116_elemwise_kernelILi256ELi4EZNS1_43_compute_linear_combination_internal_kernelIN3c107complexIfEEEEvRNS_14TensorIteratorEiiiEUliE_EEviT1_.uses_vcc, 1
	.set _ZN2at6native12_GLOBAL__N_116_elemwise_kernelILi256ELi4EZNS1_43_compute_linear_combination_internal_kernelIN3c107complexIfEEEEvRNS_14TensorIteratorEiiiEUliE_EEviT1_.uses_flat_scratch, 0
	.set _ZN2at6native12_GLOBAL__N_116_elemwise_kernelILi256ELi4EZNS1_43_compute_linear_combination_internal_kernelIN3c107complexIfEEEEvRNS_14TensorIteratorEiiiEUliE_EEviT1_.has_dyn_sized_stack, 0
	.set _ZN2at6native12_GLOBAL__N_116_elemwise_kernelILi256ELi4EZNS1_43_compute_linear_combination_internal_kernelIN3c107complexIfEEEEvRNS_14TensorIteratorEiiiEUliE_EEviT1_.has_recursion, 0
	.set _ZN2at6native12_GLOBAL__N_116_elemwise_kernelILi256ELi4EZNS1_43_compute_linear_combination_internal_kernelIN3c107complexIfEEEEvRNS_14TensorIteratorEiiiEUliE_EEviT1_.has_indirect_call, 0
	.section	.AMDGPU.csdata,"",@progbits
; Kernel info:
; codeLenInByte = 2792
; TotalNumSgprs: 56
; NumVgprs: 14
; ScratchSize: 0
; MemoryBound: 0
; FloatMode: 240
; IeeeMode: 1
; LDSByteSize: 0 bytes/workgroup (compile time only)
; SGPRBlocks: 6
; VGPRBlocks: 3
; NumSGPRsForWavesPerEU: 56
; NumVGPRsForWavesPerEU: 14
; Occupancy: 10
; WaveLimiterHint : 1
; COMPUTE_PGM_RSRC2:SCRATCH_EN: 0
; COMPUTE_PGM_RSRC2:USER_SGPR: 6
; COMPUTE_PGM_RSRC2:TRAP_HANDLER: 0
; COMPUTE_PGM_RSRC2:TGID_X_EN: 1
; COMPUTE_PGM_RSRC2:TGID_Y_EN: 0
; COMPUTE_PGM_RSRC2:TGID_Z_EN: 0
; COMPUTE_PGM_RSRC2:TIDIG_COMP_CNT: 0
	.section	.text._ZN2at6native12_GLOBAL__N_116_elemwise_kernelILi256ELi4EZNS1_43_compute_linear_combination_internal_kernelIN3c104HalfEEEvRNS_14TensorIteratorEiiiEUliE_EEviT1_,"axG",@progbits,_ZN2at6native12_GLOBAL__N_116_elemwise_kernelILi256ELi4EZNS1_43_compute_linear_combination_internal_kernelIN3c104HalfEEEvRNS_14TensorIteratorEiiiEUliE_EEviT1_,comdat
	.globl	_ZN2at6native12_GLOBAL__N_116_elemwise_kernelILi256ELi4EZNS1_43_compute_linear_combination_internal_kernelIN3c104HalfEEEvRNS_14TensorIteratorEiiiEUliE_EEviT1_ ; -- Begin function _ZN2at6native12_GLOBAL__N_116_elemwise_kernelILi256ELi4EZNS1_43_compute_linear_combination_internal_kernelIN3c104HalfEEEvRNS_14TensorIteratorEiiiEUliE_EEviT1_
	.p2align	8
	.type	_ZN2at6native12_GLOBAL__N_116_elemwise_kernelILi256ELi4EZNS1_43_compute_linear_combination_internal_kernelIN3c104HalfEEEvRNS_14TensorIteratorEiiiEUliE_EEviT1_,@function
_ZN2at6native12_GLOBAL__N_116_elemwise_kernelILi256ELi4EZNS1_43_compute_linear_combination_internal_kernelIN3c104HalfEEEvRNS_14TensorIteratorEiiiEUliE_EEviT1_: ; @_ZN2at6native12_GLOBAL__N_116_elemwise_kernelILi256ELi4EZNS1_43_compute_linear_combination_internal_kernelIN3c104HalfEEEvRNS_14TensorIteratorEiiiEUliE_EEviT1_
; %bb.0:
	s_load_dword s41, s[4:5], 0x0
	s_load_dwordx8 s[8:15], s[4:5], 0x8
	v_lshl_or_b32 v7, s6, 10, v0
	s_load_dwordx4 s[24:27], s[4:5], 0xcc
	s_load_dwordx2 s[6:7], s[4:5], 0xdc
	s_load_dwordx4 s[16:19], s[4:5], 0x1a8
	s_add_u32 s33, s4, 8
	s_addc_u32 s40, s5, 0
	s_waitcnt lgkmcnt(0)
	v_sub_co_u32_e64 v0, s[0:1], s8, 1
	s_xor_b64 s[30:31], s[0:1], -1
	v_readfirstlane_b32 s0, v0
	s_load_dwordx2 s[2:3], s[4:5], 0x1a0
	s_load_dwordx4 s[20:23], s[4:5], 0x190
	s_min_u32 s15, s0, 15
	s_cmp_gt_u32 s8, 1
	v_cmp_lt_u32_e64 s[0:1], 1, v0
	s_cselect_b64 s[28:29], -1, 0
	s_cmp_gt_i32 s16, 0
	v_cndmask_b32_e64 v0, 0, 1, s[0:1]
	s_mov_b64 s[36:37], -1
	s_cselect_b64 s[4:5], -1, 0
	v_cmp_gt_i32_e32 vcc, s41, v7
	v_cmp_ne_u32_e64 s[0:1], 1, v0
	s_and_saveexec_b64 s[34:35], vcc
	s_cbranch_execnz .LBB9_4
; %bb.1:
	s_or_b64 exec, exec, s[34:35]
	v_cmp_gt_i32_e32 vcc, s41, v7
	s_and_saveexec_b64 s[34:35], vcc
	s_cbranch_execnz .LBB9_18
.LBB9_2:
	s_or_b64 exec, exec, s[34:35]
	v_cmp_gt_i32_e32 vcc, s41, v7
	s_and_saveexec_b64 s[34:35], vcc
	s_cbranch_execnz .LBB9_32
.LBB9_3:
	s_or_b64 exec, exec, s[34:35]
	v_cmp_gt_i32_e32 vcc, s41, v7
	s_and_saveexec_b64 s[34:35], vcc
	s_cbranch_execnz .LBB9_46
	s_branch .LBB9_59
.LBB9_4:
	s_and_b64 vcc, exec, s[0:1]
                                        ; implicit-def: $vgpr2
                                        ; implicit-def: $vgpr4
                                        ; implicit-def: $vgpr0
	s_cbranch_vccnz .LBB9_11
; %bb.5:
	v_mov_b32_e32 v2, 0
	s_andn2_b64 vcc, exec, s[30:31]
	v_mov_b32_e32 v4, 0
	v_mov_b32_e32 v0, 0
	s_cbranch_vccnz .LBB9_10
; %bb.6:
	s_add_i32 s8, s15, 1
	s_and_b32 s8, s8, 30
	s_add_u32 s36, s33, 0xffffffe8
	s_addc_u32 s37, s40, -1
	v_mov_b32_e32 v0, 0
	v_mov_b32_e32 v4, 0
	v_mov_b32_e32 v2, 0
	v_mov_b32_e32 v1, v7
.LBB9_7:                                ; =>This Inner Loop Header: Depth=1
	s_load_dwordx4 s[44:47], s[36:37], 0x1c
	s_load_dwordx2 s[38:39], s[36:37], 0x2c
	s_load_dwordx2 s[42:43], s[36:37], 0xec
	s_load_dwordx4 s[48:51], s[36:37], 0xdc
	s_add_u32 s36, s36, 24
	s_waitcnt lgkmcnt(0)
	v_mul_hi_u32 v3, s45, v1
	s_addc_u32 s37, s37, 0
	s_add_i32 s8, s8, -2
	s_cmp_lg_u32 s8, 0
	v_add_u32_e32 v3, v1, v3
	v_lshrrev_b32_e32 v3, s46, v3
	v_mul_lo_u32 v5, v3, s44
	v_mul_hi_u32 v6, s38, v3
	v_sub_u32_e32 v5, v1, v5
	v_add_u32_e32 v1, v3, v6
	v_lshrrev_b32_e32 v1, s39, v1
	v_mul_lo_u32 v9, v1, s47
	v_mul_lo_u32 v6, v5, s48
	;; [unrolled: 1-line block ×4, first 2 shown]
	v_sub_u32_e32 v3, v3, v9
	v_mul_lo_u32 v9, v3, s51
	v_mul_lo_u32 v10, v3, s42
	;; [unrolled: 1-line block ×3, first 2 shown]
	v_add3_u32 v2, v6, v2, v9
	v_add3_u32 v4, v8, v4, v10
	v_add3_u32 v0, v5, v0, v3
	s_cbranch_scc1 .LBB9_7
; %bb.8:
	s_bitcmp1_b32 s15, 0
	s_cselect_b64 s[38:39], -1, 0
	s_and_b64 vcc, exec, s[38:39]
	s_cbranch_vccnz .LBB9_10
; %bb.9:
	s_load_dwordx2 s[38:39], s[36:37], 0x1c
	s_load_dword s8, s[36:37], 0x24
	s_load_dwordx2 s[42:43], s[36:37], 0xdc
	s_waitcnt lgkmcnt(0)
	v_mul_hi_u32 v3, s39, v1
	v_add_u32_e32 v3, v1, v3
	v_lshrrev_b32_e32 v3, s8, v3
	v_mul_lo_u32 v3, v3, s38
	s_load_dword s8, s[36:37], 0xe4
	v_sub_u32_e32 v1, v1, v3
	v_mad_u64_u32 v[2:3], s[36:37], v1, s42, v[2:3]
	v_mad_u64_u32 v[4:5], s[36:37], v1, s43, v[4:5]
	s_waitcnt lgkmcnt(0)
	v_mad_u64_u32 v[0:1], s[36:37], v1, s8, v[0:1]
.LBB9_10:
	s_mov_b64 s[36:37], 0
.LBB9_11:
	s_andn2_b64 vcc, exec, s[36:37]
	s_cbranch_vccnz .LBB9_14
; %bb.12:
	v_mul_hi_u32 v0, s10, v7
	s_andn2_b64 vcc, exec, s[28:29]
	v_add_u32_e32 v0, v7, v0
	v_lshrrev_b32_e32 v1, s11, v0
	v_mul_lo_u32 v0, v1, s9
	v_sub_u32_e32 v0, v7, v0
	v_mul_lo_u32 v2, v0, s24
	v_mul_lo_u32 v4, v0, s25
	;; [unrolled: 1-line block ×3, first 2 shown]
	s_cbranch_vccnz .LBB9_14
; %bb.13:
	v_mul_hi_u32 v3, s13, v1
	v_add_u32_e32 v3, v1, v3
	v_lshrrev_b32_e32 v3, s14, v3
	v_mul_lo_u32 v3, v3, s12
	v_sub_u32_e32 v1, v1, v3
	v_mad_u64_u32 v[2:3], s[36:37], v1, s27, v[2:3]
	v_mad_u64_u32 v[4:5], s[36:37], v1, s6, v[4:5]
	;; [unrolled: 1-line block ×3, first 2 shown]
.LBB9_14:
	s_andn2_b64 vcc, exec, s[4:5]
	s_cbranch_vccnz .LBB9_17
; %bb.15:
	s_waitcnt lgkmcnt(0)
	global_load_ushort v8, v2, s[20:21]
	v_mov_b32_e32 v3, s21
	v_add_co_u32_e32 v1, vcc, s20, v2
	v_addc_co_u32_e32 v2, vcc, 0, v3, vcc
	v_mov_b32_e32 v5, s23
	v_add_co_u32_e32 v3, vcc, s22, v4
	v_addc_co_u32_e32 v4, vcc, 0, v5, vcc
	s_ashr_i32 s19, s18, 31
	s_ashr_i32 s39, s17, 31
	s_mov_b32 s38, s17
	v_mov_b32_e32 v6, s3
	v_add_co_u32_e32 v5, vcc, s2, v0
	s_lshl_b64 s[36:37], s[18:19], 1
	s_lshl_b64 s[38:39], s[38:39], 1
	v_addc_co_u32_e32 v6, vcc, 0, v6, vcc
	v_mov_b32_e32 v0, s37
	v_mov_b32_e32 v9, s39
	s_mov_b32 s8, s16
.LBB9_16:                               ; =>This Inner Loop Header: Depth=1
	global_load_ushort v10, v[3:4], off
	global_load_ushort v11, v[5:6], off
	v_add_co_u32_e32 v5, vcc, s36, v5
	v_addc_co_u32_e32 v6, vcc, v6, v0, vcc
	s_add_i32 s8, s8, -1
	v_add_co_u32_e32 v3, vcc, s38, v3
	v_addc_co_u32_e32 v4, vcc, v4, v9, vcc
	s_cmp_lg_u32 s8, 0
	s_waitcnt vmcnt(0)
	v_fma_f16 v8, v10, v11, v8
	global_store_short v[1:2], v8, off
	s_cbranch_scc1 .LBB9_16
.LBB9_17:
	v_add_u32_e32 v7, 0x100, v7
	s_or_b64 exec, exec, s[34:35]
	v_cmp_gt_i32_e32 vcc, s41, v7
	s_and_saveexec_b64 s[34:35], vcc
	s_cbranch_execz .LBB9_2
.LBB9_18:
	s_and_b64 vcc, exec, s[0:1]
	s_cbranch_vccnz .LBB9_25
; %bb.19:
	v_mov_b32_e32 v2, 0
	s_andn2_b64 vcc, exec, s[30:31]
	v_mov_b32_e32 v4, 0
	v_mov_b32_e32 v0, 0
	s_cbranch_vccnz .LBB9_24
; %bb.20:
	s_add_i32 s8, s15, 1
	s_and_b32 s8, s8, 30
	s_add_u32 s36, s33, 0xffffffe8
	s_addc_u32 s37, s40, -1
	v_mov_b32_e32 v0, 0
	v_mov_b32_e32 v4, 0
	;; [unrolled: 1-line block ×4, first 2 shown]
.LBB9_21:                               ; =>This Inner Loop Header: Depth=1
	s_load_dwordx4 s[44:47], s[36:37], 0x1c
	s_load_dwordx2 s[38:39], s[36:37], 0x2c
	s_load_dwordx2 s[42:43], s[36:37], 0xec
	s_load_dwordx4 s[48:51], s[36:37], 0xdc
	s_add_u32 s36, s36, 24
	s_waitcnt lgkmcnt(0)
	v_mul_hi_u32 v3, s45, v1
	s_addc_u32 s37, s37, 0
	s_add_i32 s8, s8, -2
	s_cmp_eq_u32 s8, 0
	v_add_u32_e32 v3, v1, v3
	v_lshrrev_b32_e32 v3, s46, v3
	v_mul_lo_u32 v5, v3, s44
	v_mul_hi_u32 v6, s38, v3
	v_sub_u32_e32 v5, v1, v5
	v_add_u32_e32 v1, v3, v6
	v_lshrrev_b32_e32 v1, s39, v1
	v_mul_lo_u32 v9, v1, s47
	v_mul_lo_u32 v6, v5, s48
	;; [unrolled: 1-line block ×4, first 2 shown]
	v_sub_u32_e32 v3, v3, v9
	v_mul_lo_u32 v9, v3, s51
	v_mul_lo_u32 v10, v3, s42
	v_mul_lo_u32 v3, v3, s43
	v_add3_u32 v2, v6, v2, v9
	v_add3_u32 v4, v8, v4, v10
	;; [unrolled: 1-line block ×3, first 2 shown]
	s_cbranch_scc0 .LBB9_21
; %bb.22:
	s_bitcmp1_b32 s15, 0
	s_cselect_b64 s[38:39], -1, 0
	s_and_b64 vcc, exec, s[38:39]
	s_cbranch_vccnz .LBB9_24
; %bb.23:
	s_load_dwordx2 s[38:39], s[36:37], 0x1c
	s_load_dword s8, s[36:37], 0x24
	s_load_dwordx2 s[42:43], s[36:37], 0xdc
	s_waitcnt lgkmcnt(0)
	v_mul_hi_u32 v3, s39, v1
	v_add_u32_e32 v3, v1, v3
	v_lshrrev_b32_e32 v3, s8, v3
	v_mul_lo_u32 v3, v3, s38
	s_load_dword s8, s[36:37], 0xe4
	v_sub_u32_e32 v1, v1, v3
	v_mad_u64_u32 v[2:3], s[36:37], v1, s42, v[2:3]
	v_mad_u64_u32 v[4:5], s[36:37], v1, s43, v[4:5]
	s_waitcnt lgkmcnt(0)
	v_mad_u64_u32 v[0:1], s[36:37], v1, s8, v[0:1]
.LBB9_24:
	s_cbranch_execz .LBB9_26
	s_branch .LBB9_28
.LBB9_25:
                                        ; implicit-def: $vgpr2
                                        ; implicit-def: $vgpr4
                                        ; implicit-def: $vgpr0
.LBB9_26:
	v_mul_hi_u32 v0, s10, v7
	s_andn2_b64 vcc, exec, s[28:29]
	v_add_u32_e32 v0, v7, v0
	v_lshrrev_b32_e32 v1, s11, v0
	v_mul_lo_u32 v0, v1, s9
	v_sub_u32_e32 v0, v7, v0
	v_mul_lo_u32 v2, v0, s24
	v_mul_lo_u32 v4, v0, s25
	;; [unrolled: 1-line block ×3, first 2 shown]
	s_cbranch_vccnz .LBB9_28
; %bb.27:
	v_mul_hi_u32 v3, s13, v1
	v_add_u32_e32 v3, v1, v3
	v_lshrrev_b32_e32 v3, s14, v3
	v_mul_lo_u32 v3, v3, s12
	v_sub_u32_e32 v1, v1, v3
	v_mad_u64_u32 v[2:3], s[36:37], v1, s27, v[2:3]
	v_mad_u64_u32 v[4:5], s[36:37], v1, s6, v[4:5]
	;; [unrolled: 1-line block ×3, first 2 shown]
.LBB9_28:
	s_andn2_b64 vcc, exec, s[4:5]
	s_cbranch_vccnz .LBB9_31
; %bb.29:
	s_waitcnt lgkmcnt(0)
	global_load_ushort v8, v2, s[20:21]
	v_mov_b32_e32 v3, s21
	v_add_co_u32_e32 v1, vcc, s20, v2
	v_addc_co_u32_e32 v2, vcc, 0, v3, vcc
	v_mov_b32_e32 v5, s23
	v_add_co_u32_e32 v3, vcc, s22, v4
	v_addc_co_u32_e32 v4, vcc, 0, v5, vcc
	s_ashr_i32 s19, s18, 31
	s_ashr_i32 s39, s17, 31
	s_mov_b32 s38, s17
	v_mov_b32_e32 v6, s3
	v_add_co_u32_e32 v5, vcc, s2, v0
	s_lshl_b64 s[36:37], s[18:19], 1
	s_lshl_b64 s[38:39], s[38:39], 1
	v_addc_co_u32_e32 v6, vcc, 0, v6, vcc
	v_mov_b32_e32 v0, s37
	v_mov_b32_e32 v9, s39
	s_mov_b32 s8, s16
.LBB9_30:                               ; =>This Inner Loop Header: Depth=1
	global_load_ushort v10, v[3:4], off
	global_load_ushort v11, v[5:6], off
	v_add_co_u32_e32 v5, vcc, s36, v5
	v_addc_co_u32_e32 v6, vcc, v6, v0, vcc
	s_add_i32 s8, s8, -1
	v_add_co_u32_e32 v3, vcc, s38, v3
	v_addc_co_u32_e32 v4, vcc, v4, v9, vcc
	s_cmp_lg_u32 s8, 0
	s_waitcnt vmcnt(0)
	v_fma_f16 v8, v10, v11, v8
	global_store_short v[1:2], v8, off
	s_cbranch_scc1 .LBB9_30
.LBB9_31:
	v_add_u32_e32 v7, 0x100, v7
	s_or_b64 exec, exec, s[34:35]
	v_cmp_gt_i32_e32 vcc, s41, v7
	s_and_saveexec_b64 s[34:35], vcc
	s_cbranch_execz .LBB9_3
.LBB9_32:
	s_and_b64 vcc, exec, s[0:1]
	s_cbranch_vccnz .LBB9_39
; %bb.33:
	v_mov_b32_e32 v2, 0
	s_andn2_b64 vcc, exec, s[30:31]
	v_mov_b32_e32 v4, 0
	v_mov_b32_e32 v0, 0
	s_cbranch_vccnz .LBB9_38
; %bb.34:
	s_add_i32 s8, s15, 1
	s_and_b32 s8, s8, 30
	s_add_u32 s36, s33, 0xffffffe8
	s_addc_u32 s37, s40, -1
	v_mov_b32_e32 v0, 0
	v_mov_b32_e32 v4, 0
	v_mov_b32_e32 v2, 0
	v_mov_b32_e32 v1, v7
.LBB9_35:                               ; =>This Inner Loop Header: Depth=1
	s_load_dwordx4 s[44:47], s[36:37], 0x1c
	s_load_dwordx2 s[38:39], s[36:37], 0x2c
	s_load_dwordx2 s[42:43], s[36:37], 0xec
	s_load_dwordx4 s[48:51], s[36:37], 0xdc
	s_add_u32 s36, s36, 24
	s_waitcnt lgkmcnt(0)
	v_mul_hi_u32 v3, s45, v1
	s_addc_u32 s37, s37, 0
	s_add_i32 s8, s8, -2
	s_cmp_eq_u32 s8, 0
	v_add_u32_e32 v3, v1, v3
	v_lshrrev_b32_e32 v3, s46, v3
	v_mul_lo_u32 v5, v3, s44
	v_mul_hi_u32 v6, s38, v3
	v_sub_u32_e32 v5, v1, v5
	v_add_u32_e32 v1, v3, v6
	v_lshrrev_b32_e32 v1, s39, v1
	v_mul_lo_u32 v9, v1, s47
	v_mul_lo_u32 v6, v5, s48
	;; [unrolled: 1-line block ×4, first 2 shown]
	v_sub_u32_e32 v3, v3, v9
	v_mul_lo_u32 v9, v3, s51
	v_mul_lo_u32 v10, v3, s42
	;; [unrolled: 1-line block ×3, first 2 shown]
	v_add3_u32 v2, v6, v2, v9
	v_add3_u32 v4, v8, v4, v10
	;; [unrolled: 1-line block ×3, first 2 shown]
	s_cbranch_scc0 .LBB9_35
; %bb.36:
	s_bitcmp1_b32 s15, 0
	s_cselect_b64 s[38:39], -1, 0
	s_and_b64 vcc, exec, s[38:39]
	s_cbranch_vccnz .LBB9_38
; %bb.37:
	s_load_dwordx2 s[38:39], s[36:37], 0x1c
	s_load_dword s8, s[36:37], 0x24
	s_load_dwordx2 s[42:43], s[36:37], 0xdc
	s_waitcnt lgkmcnt(0)
	v_mul_hi_u32 v3, s39, v1
	v_add_u32_e32 v3, v1, v3
	v_lshrrev_b32_e32 v3, s8, v3
	v_mul_lo_u32 v3, v3, s38
	s_load_dword s8, s[36:37], 0xe4
	v_sub_u32_e32 v1, v1, v3
	v_mad_u64_u32 v[2:3], s[36:37], v1, s42, v[2:3]
	v_mad_u64_u32 v[4:5], s[36:37], v1, s43, v[4:5]
	s_waitcnt lgkmcnt(0)
	v_mad_u64_u32 v[0:1], s[36:37], v1, s8, v[0:1]
.LBB9_38:
	s_cbranch_execz .LBB9_40
	s_branch .LBB9_42
.LBB9_39:
                                        ; implicit-def: $vgpr2
                                        ; implicit-def: $vgpr4
                                        ; implicit-def: $vgpr0
.LBB9_40:
	v_mul_hi_u32 v0, s10, v7
	s_andn2_b64 vcc, exec, s[28:29]
	v_add_u32_e32 v0, v7, v0
	v_lshrrev_b32_e32 v1, s11, v0
	v_mul_lo_u32 v0, v1, s9
	v_sub_u32_e32 v0, v7, v0
	v_mul_lo_u32 v2, v0, s24
	v_mul_lo_u32 v4, v0, s25
	;; [unrolled: 1-line block ×3, first 2 shown]
	s_cbranch_vccnz .LBB9_42
; %bb.41:
	v_mul_hi_u32 v3, s13, v1
	v_add_u32_e32 v3, v1, v3
	v_lshrrev_b32_e32 v3, s14, v3
	v_mul_lo_u32 v3, v3, s12
	v_sub_u32_e32 v1, v1, v3
	v_mad_u64_u32 v[2:3], s[36:37], v1, s27, v[2:3]
	v_mad_u64_u32 v[4:5], s[36:37], v1, s6, v[4:5]
	;; [unrolled: 1-line block ×3, first 2 shown]
.LBB9_42:
	s_andn2_b64 vcc, exec, s[4:5]
	s_cbranch_vccnz .LBB9_45
; %bb.43:
	s_waitcnt lgkmcnt(0)
	global_load_ushort v8, v2, s[20:21]
	v_mov_b32_e32 v3, s21
	v_add_co_u32_e32 v1, vcc, s20, v2
	v_addc_co_u32_e32 v2, vcc, 0, v3, vcc
	v_mov_b32_e32 v5, s23
	v_add_co_u32_e32 v3, vcc, s22, v4
	v_addc_co_u32_e32 v4, vcc, 0, v5, vcc
	s_ashr_i32 s19, s18, 31
	s_ashr_i32 s39, s17, 31
	s_mov_b32 s38, s17
	v_mov_b32_e32 v6, s3
	v_add_co_u32_e32 v5, vcc, s2, v0
	s_lshl_b64 s[36:37], s[18:19], 1
	s_lshl_b64 s[38:39], s[38:39], 1
	v_addc_co_u32_e32 v6, vcc, 0, v6, vcc
	v_mov_b32_e32 v0, s37
	v_mov_b32_e32 v9, s39
	s_mov_b32 s8, s16
.LBB9_44:                               ; =>This Inner Loop Header: Depth=1
	global_load_ushort v10, v[3:4], off
	global_load_ushort v11, v[5:6], off
	v_add_co_u32_e32 v5, vcc, s36, v5
	v_addc_co_u32_e32 v6, vcc, v6, v0, vcc
	s_add_i32 s8, s8, -1
	v_add_co_u32_e32 v3, vcc, s38, v3
	v_addc_co_u32_e32 v4, vcc, v4, v9, vcc
	s_cmp_lg_u32 s8, 0
	s_waitcnt vmcnt(0)
	v_fma_f16 v8, v10, v11, v8
	global_store_short v[1:2], v8, off
	s_cbranch_scc1 .LBB9_44
.LBB9_45:
	v_add_u32_e32 v7, 0x100, v7
	s_or_b64 exec, exec, s[34:35]
	v_cmp_gt_i32_e32 vcc, s41, v7
	s_and_saveexec_b64 s[34:35], vcc
	s_cbranch_execz .LBB9_59
.LBB9_46:
	s_and_b64 vcc, exec, s[0:1]
	s_cbranch_vccnz .LBB9_53
; %bb.47:
	v_mov_b32_e32 v2, 0
	s_andn2_b64 vcc, exec, s[30:31]
	v_mov_b32_e32 v4, 0
	v_mov_b32_e32 v0, 0
	s_cbranch_vccnz .LBB9_52
; %bb.48:
	s_add_i32 s0, s15, 1
	s_and_b32 s8, s0, 30
	s_add_u32 s0, s33, 0xffffffe8
	s_addc_u32 s1, s40, -1
	v_mov_b32_e32 v0, 0
	v_mov_b32_e32 v4, 0
	v_mov_b32_e32 v2, 0
	v_mov_b32_e32 v1, v7
.LBB9_49:                               ; =>This Inner Loop Header: Depth=1
	s_load_dwordx4 s[36:39], s[0:1], 0x1c
	s_load_dwordx2 s[30:31], s[0:1], 0x2c
	s_load_dwordx2 s[34:35], s[0:1], 0xec
	s_load_dwordx4 s[40:43], s[0:1], 0xdc
	s_add_u32 s0, s0, 24
	s_waitcnt lgkmcnt(0)
	v_mul_hi_u32 v3, s37, v1
	s_addc_u32 s1, s1, 0
	s_add_i32 s8, s8, -2
	s_cmp_eq_u32 s8, 0
	v_add_u32_e32 v3, v1, v3
	v_lshrrev_b32_e32 v3, s38, v3
	v_mul_lo_u32 v5, v3, s36
	v_mul_hi_u32 v6, s30, v3
	v_sub_u32_e32 v5, v1, v5
	v_add_u32_e32 v1, v3, v6
	v_lshrrev_b32_e32 v1, s31, v1
	v_mul_lo_u32 v9, v1, s39
	v_mul_lo_u32 v6, v5, s40
	v_mul_lo_u32 v8, v5, s41
	v_mul_lo_u32 v5, v5, s42
	v_sub_u32_e32 v3, v3, v9
	v_mul_lo_u32 v9, v3, s43
	v_mul_lo_u32 v10, v3, s34
	;; [unrolled: 1-line block ×3, first 2 shown]
	v_add3_u32 v2, v6, v2, v9
	v_add3_u32 v4, v8, v4, v10
	;; [unrolled: 1-line block ×3, first 2 shown]
	s_cbranch_scc0 .LBB9_49
; %bb.50:
	s_bitcmp1_b32 s15, 0
	s_cselect_b64 s[30:31], -1, 0
	s_and_b64 vcc, exec, s[30:31]
	s_cbranch_vccnz .LBB9_52
; %bb.51:
	s_load_dwordx2 s[30:31], s[0:1], 0x1c
	s_load_dword s8, s[0:1], 0x24
	s_load_dwordx2 s[34:35], s[0:1], 0xdc
	s_waitcnt lgkmcnt(0)
	v_mul_hi_u32 v3, s31, v1
	v_add_u32_e32 v3, v1, v3
	v_lshrrev_b32_e32 v3, s8, v3
	v_mul_lo_u32 v3, v3, s30
	s_load_dword s8, s[0:1], 0xe4
	v_sub_u32_e32 v1, v1, v3
	v_mad_u64_u32 v[2:3], s[0:1], v1, s34, v[2:3]
	v_mad_u64_u32 v[4:5], s[0:1], v1, s35, v[4:5]
	s_waitcnt lgkmcnt(0)
	v_mad_u64_u32 v[0:1], s[0:1], v1, s8, v[0:1]
.LBB9_52:
	s_cbranch_execz .LBB9_54
	s_branch .LBB9_56
.LBB9_53:
                                        ; implicit-def: $vgpr2
                                        ; implicit-def: $vgpr4
                                        ; implicit-def: $vgpr0
.LBB9_54:
	v_mul_hi_u32 v0, s10, v7
	s_andn2_b64 vcc, exec, s[28:29]
	v_add_u32_e32 v0, v7, v0
	v_lshrrev_b32_e32 v1, s11, v0
	v_mul_lo_u32 v0, v1, s9
	v_sub_u32_e32 v0, v7, v0
	v_mul_lo_u32 v2, v0, s24
	v_mul_lo_u32 v4, v0, s25
	;; [unrolled: 1-line block ×3, first 2 shown]
	s_cbranch_vccnz .LBB9_56
; %bb.55:
	v_mul_hi_u32 v3, s13, v1
	v_add_u32_e32 v3, v1, v3
	v_lshrrev_b32_e32 v3, s14, v3
	v_mul_lo_u32 v3, v3, s12
	v_sub_u32_e32 v1, v1, v3
	v_mad_u64_u32 v[2:3], s[0:1], v1, s27, v[2:3]
	v_mad_u64_u32 v[4:5], s[0:1], v1, s6, v[4:5]
	;; [unrolled: 1-line block ×3, first 2 shown]
.LBB9_56:
	s_andn2_b64 vcc, exec, s[4:5]
	s_cbranch_vccnz .LBB9_59
; %bb.57:
	s_waitcnt lgkmcnt(0)
	global_load_ushort v7, v2, s[20:21]
	v_mov_b32_e32 v3, s21
	v_add_co_u32_e32 v1, vcc, s20, v2
	v_addc_co_u32_e32 v2, vcc, 0, v3, vcc
	v_mov_b32_e32 v5, s23
	v_add_co_u32_e32 v3, vcc, s22, v4
	v_addc_co_u32_e32 v4, vcc, 0, v5, vcc
	v_mov_b32_e32 v6, s3
	v_add_co_u32_e32 v5, vcc, s2, v0
	s_ashr_i32 s19, s18, 31
	s_ashr_i32 s3, s17, 31
	s_mov_b32 s2, s17
	s_lshl_b64 s[0:1], s[18:19], 1
	s_lshl_b64 s[2:3], s[2:3], 1
	v_addc_co_u32_e32 v6, vcc, 0, v6, vcc
	v_mov_b32_e32 v0, s1
	v_mov_b32_e32 v8, s3
.LBB9_58:                               ; =>This Inner Loop Header: Depth=1
	global_load_ushort v9, v[3:4], off
	global_load_ushort v10, v[5:6], off
	v_add_co_u32_e32 v5, vcc, s0, v5
	v_addc_co_u32_e32 v6, vcc, v6, v0, vcc
	s_add_i32 s16, s16, -1
	v_add_co_u32_e32 v3, vcc, s2, v3
	v_addc_co_u32_e32 v4, vcc, v4, v8, vcc
	s_cmp_lg_u32 s16, 0
	s_waitcnt vmcnt(0)
	v_fma_f16 v7, v9, v10, v7
	global_store_short v[1:2], v7, off
	s_cbranch_scc1 .LBB9_58
.LBB9_59:
	s_endpgm
	.section	.rodata,"a",@progbits
	.p2align	6, 0x0
	.amdhsa_kernel _ZN2at6native12_GLOBAL__N_116_elemwise_kernelILi256ELi4EZNS1_43_compute_linear_combination_internal_kernelIN3c104HalfEEEvRNS_14TensorIteratorEiiiEUliE_EEviT1_
		.amdhsa_group_segment_fixed_size 0
		.amdhsa_private_segment_fixed_size 0
		.amdhsa_kernarg_size 440
		.amdhsa_user_sgpr_count 6
		.amdhsa_user_sgpr_private_segment_buffer 1
		.amdhsa_user_sgpr_dispatch_ptr 0
		.amdhsa_user_sgpr_queue_ptr 0
		.amdhsa_user_sgpr_kernarg_segment_ptr 1
		.amdhsa_user_sgpr_dispatch_id 0
		.amdhsa_user_sgpr_flat_scratch_init 0
		.amdhsa_user_sgpr_private_segment_size 0
		.amdhsa_uses_dynamic_stack 0
		.amdhsa_system_sgpr_private_segment_wavefront_offset 0
		.amdhsa_system_sgpr_workgroup_id_x 1
		.amdhsa_system_sgpr_workgroup_id_y 0
		.amdhsa_system_sgpr_workgroup_id_z 0
		.amdhsa_system_sgpr_workgroup_info 0
		.amdhsa_system_vgpr_workitem_id 0
		.amdhsa_next_free_vgpr 12
		.amdhsa_next_free_sgpr 52
		.amdhsa_reserve_vcc 1
		.amdhsa_reserve_flat_scratch 0
		.amdhsa_float_round_mode_32 0
		.amdhsa_float_round_mode_16_64 0
		.amdhsa_float_denorm_mode_32 3
		.amdhsa_float_denorm_mode_16_64 3
		.amdhsa_dx10_clamp 1
		.amdhsa_ieee_mode 1
		.amdhsa_fp16_overflow 0
		.amdhsa_exception_fp_ieee_invalid_op 0
		.amdhsa_exception_fp_denorm_src 0
		.amdhsa_exception_fp_ieee_div_zero 0
		.amdhsa_exception_fp_ieee_overflow 0
		.amdhsa_exception_fp_ieee_underflow 0
		.amdhsa_exception_fp_ieee_inexact 0
		.amdhsa_exception_int_div_zero 0
	.end_amdhsa_kernel
	.section	.text._ZN2at6native12_GLOBAL__N_116_elemwise_kernelILi256ELi4EZNS1_43_compute_linear_combination_internal_kernelIN3c104HalfEEEvRNS_14TensorIteratorEiiiEUliE_EEviT1_,"axG",@progbits,_ZN2at6native12_GLOBAL__N_116_elemwise_kernelILi256ELi4EZNS1_43_compute_linear_combination_internal_kernelIN3c104HalfEEEvRNS_14TensorIteratorEiiiEUliE_EEviT1_,comdat
.Lfunc_end9:
	.size	_ZN2at6native12_GLOBAL__N_116_elemwise_kernelILi256ELi4EZNS1_43_compute_linear_combination_internal_kernelIN3c104HalfEEEvRNS_14TensorIteratorEiiiEUliE_EEviT1_, .Lfunc_end9-_ZN2at6native12_GLOBAL__N_116_elemwise_kernelILi256ELi4EZNS1_43_compute_linear_combination_internal_kernelIN3c104HalfEEEvRNS_14TensorIteratorEiiiEUliE_EEviT1_
                                        ; -- End function
	.set _ZN2at6native12_GLOBAL__N_116_elemwise_kernelILi256ELi4EZNS1_43_compute_linear_combination_internal_kernelIN3c104HalfEEEvRNS_14TensorIteratorEiiiEUliE_EEviT1_.num_vgpr, 12
	.set _ZN2at6native12_GLOBAL__N_116_elemwise_kernelILi256ELi4EZNS1_43_compute_linear_combination_internal_kernelIN3c104HalfEEEvRNS_14TensorIteratorEiiiEUliE_EEviT1_.num_agpr, 0
	.set _ZN2at6native12_GLOBAL__N_116_elemwise_kernelILi256ELi4EZNS1_43_compute_linear_combination_internal_kernelIN3c104HalfEEEvRNS_14TensorIteratorEiiiEUliE_EEviT1_.numbered_sgpr, 52
	.set _ZN2at6native12_GLOBAL__N_116_elemwise_kernelILi256ELi4EZNS1_43_compute_linear_combination_internal_kernelIN3c104HalfEEEvRNS_14TensorIteratorEiiiEUliE_EEviT1_.num_named_barrier, 0
	.set _ZN2at6native12_GLOBAL__N_116_elemwise_kernelILi256ELi4EZNS1_43_compute_linear_combination_internal_kernelIN3c104HalfEEEvRNS_14TensorIteratorEiiiEUliE_EEviT1_.private_seg_size, 0
	.set _ZN2at6native12_GLOBAL__N_116_elemwise_kernelILi256ELi4EZNS1_43_compute_linear_combination_internal_kernelIN3c104HalfEEEvRNS_14TensorIteratorEiiiEUliE_EEviT1_.uses_vcc, 1
	.set _ZN2at6native12_GLOBAL__N_116_elemwise_kernelILi256ELi4EZNS1_43_compute_linear_combination_internal_kernelIN3c104HalfEEEvRNS_14TensorIteratorEiiiEUliE_EEviT1_.uses_flat_scratch, 0
	.set _ZN2at6native12_GLOBAL__N_116_elemwise_kernelILi256ELi4EZNS1_43_compute_linear_combination_internal_kernelIN3c104HalfEEEvRNS_14TensorIteratorEiiiEUliE_EEviT1_.has_dyn_sized_stack, 0
	.set _ZN2at6native12_GLOBAL__N_116_elemwise_kernelILi256ELi4EZNS1_43_compute_linear_combination_internal_kernelIN3c104HalfEEEvRNS_14TensorIteratorEiiiEUliE_EEviT1_.has_recursion, 0
	.set _ZN2at6native12_GLOBAL__N_116_elemwise_kernelILi256ELi4EZNS1_43_compute_linear_combination_internal_kernelIN3c104HalfEEEvRNS_14TensorIteratorEiiiEUliE_EEviT1_.has_indirect_call, 0
	.section	.AMDGPU.csdata,"",@progbits
; Kernel info:
; codeLenInByte = 2792
; TotalNumSgprs: 56
; NumVgprs: 12
; ScratchSize: 0
; MemoryBound: 0
; FloatMode: 240
; IeeeMode: 1
; LDSByteSize: 0 bytes/workgroup (compile time only)
; SGPRBlocks: 6
; VGPRBlocks: 2
; NumSGPRsForWavesPerEU: 56
; NumVGPRsForWavesPerEU: 12
; Occupancy: 10
; WaveLimiterHint : 1
; COMPUTE_PGM_RSRC2:SCRATCH_EN: 0
; COMPUTE_PGM_RSRC2:USER_SGPR: 6
; COMPUTE_PGM_RSRC2:TRAP_HANDLER: 0
; COMPUTE_PGM_RSRC2:TGID_X_EN: 1
; COMPUTE_PGM_RSRC2:TGID_Y_EN: 0
; COMPUTE_PGM_RSRC2:TGID_Z_EN: 0
; COMPUTE_PGM_RSRC2:TIDIG_COMP_CNT: 0
	.section	.text._ZN2at6native12_GLOBAL__N_116_elemwise_kernelILi256ELi4EZNS1_43_compute_linear_combination_internal_kernelIbEEvRNS_14TensorIteratorEiiiEUliE_EEviT1_,"axG",@progbits,_ZN2at6native12_GLOBAL__N_116_elemwise_kernelILi256ELi4EZNS1_43_compute_linear_combination_internal_kernelIbEEvRNS_14TensorIteratorEiiiEUliE_EEviT1_,comdat
	.globl	_ZN2at6native12_GLOBAL__N_116_elemwise_kernelILi256ELi4EZNS1_43_compute_linear_combination_internal_kernelIbEEvRNS_14TensorIteratorEiiiEUliE_EEviT1_ ; -- Begin function _ZN2at6native12_GLOBAL__N_116_elemwise_kernelILi256ELi4EZNS1_43_compute_linear_combination_internal_kernelIbEEvRNS_14TensorIteratorEiiiEUliE_EEviT1_
	.p2align	8
	.type	_ZN2at6native12_GLOBAL__N_116_elemwise_kernelILi256ELi4EZNS1_43_compute_linear_combination_internal_kernelIbEEvRNS_14TensorIteratorEiiiEUliE_EEviT1_,@function
_ZN2at6native12_GLOBAL__N_116_elemwise_kernelILi256ELi4EZNS1_43_compute_linear_combination_internal_kernelIbEEvRNS_14TensorIteratorEiiiEUliE_EEviT1_: ; @_ZN2at6native12_GLOBAL__N_116_elemwise_kernelILi256ELi4EZNS1_43_compute_linear_combination_internal_kernelIbEEvRNS_14TensorIteratorEiiiEUliE_EEviT1_
; %bb.0:
	s_load_dword s39, s[4:5], 0x0
	s_load_dwordx8 s[8:15], s[4:5], 0x8
	v_lshl_or_b32 v7, s6, 10, v0
	s_load_dwordx4 s[24:27], s[4:5], 0xcc
	s_load_dwordx2 s[6:7], s[4:5], 0xdc
	s_load_dwordx4 s[16:19], s[4:5], 0x1a8
	s_add_u32 s33, s4, 8
	s_addc_u32 s38, s5, 0
	s_waitcnt lgkmcnt(0)
	v_sub_co_u32_e64 v0, s[0:1], s8, 1
	s_xor_b64 s[30:31], s[0:1], -1
	v_readfirstlane_b32 s0, v0
	s_load_dwordx2 s[2:3], s[4:5], 0x1a0
	s_load_dwordx4 s[20:23], s[4:5], 0x190
	s_min_u32 s15, s0, 15
	s_cmp_gt_u32 s8, 1
	v_cmp_lt_u32_e64 s[0:1], 1, v0
	s_cselect_b64 s[28:29], -1, 0
	s_cmp_gt_i32 s16, 0
	v_cndmask_b32_e64 v0, 0, 1, s[0:1]
	s_mov_b64 s[36:37], -1
	s_cselect_b64 s[4:5], -1, 0
	v_cmp_gt_i32_e32 vcc, s39, v7
	v_cmp_ne_u32_e64 s[0:1], 1, v0
	s_and_saveexec_b64 s[34:35], vcc
	s_cbranch_execnz .LBB10_4
; %bb.1:
	s_or_b64 exec, exec, s[34:35]
	v_cmp_gt_i32_e32 vcc, s39, v7
	s_and_saveexec_b64 s[34:35], vcc
	s_cbranch_execnz .LBB10_18
.LBB10_2:
	s_or_b64 exec, exec, s[34:35]
	v_cmp_gt_i32_e32 vcc, s39, v7
	s_and_saveexec_b64 s[34:35], vcc
	s_cbranch_execnz .LBB10_32
.LBB10_3:
	s_or_b64 exec, exec, s[34:35]
	v_cmp_gt_i32_e32 vcc, s39, v7
	s_and_saveexec_b64 s[34:35], vcc
	s_cbranch_execnz .LBB10_46
	s_branch .LBB10_59
.LBB10_4:
	s_and_b64 vcc, exec, s[0:1]
                                        ; implicit-def: $vgpr2
                                        ; implicit-def: $vgpr4
                                        ; implicit-def: $vgpr0
	s_cbranch_vccnz .LBB10_11
; %bb.5:
	v_mov_b32_e32 v2, 0
	s_andn2_b64 vcc, exec, s[30:31]
	v_mov_b32_e32 v4, 0
	v_mov_b32_e32 v0, 0
	s_cbranch_vccnz .LBB10_10
; %bb.6:
	s_add_i32 s8, s15, 1
	s_and_b32 s8, s8, 30
	s_add_u32 s36, s33, 0xffffffe8
	s_addc_u32 s37, s38, -1
	v_mov_b32_e32 v0, 0
	v_mov_b32_e32 v4, 0
	;; [unrolled: 1-line block ×4, first 2 shown]
.LBB10_7:                               ; =>This Inner Loop Header: Depth=1
	s_load_dwordx4 s[40:43], s[36:37], 0x1c
	s_load_dwordx2 s[48:49], s[36:37], 0x2c
	s_load_dwordx2 s[50:51], s[36:37], 0xec
	s_load_dwordx4 s[44:47], s[36:37], 0xdc
	s_add_u32 s36, s36, 24
	s_waitcnt lgkmcnt(0)
	v_mul_hi_u32 v3, s41, v1
	s_addc_u32 s37, s37, 0
	s_add_i32 s8, s8, -2
	s_cmp_lg_u32 s8, 0
	v_add_u32_e32 v3, v1, v3
	v_lshrrev_b32_e32 v3, s42, v3
	v_mul_lo_u32 v5, v3, s40
	v_mul_hi_u32 v6, s48, v3
	v_sub_u32_e32 v5, v1, v5
	v_add_u32_e32 v1, v3, v6
	v_lshrrev_b32_e32 v1, s49, v1
	v_mul_lo_u32 v9, v1, s43
	v_mul_lo_u32 v6, v5, s44
	;; [unrolled: 1-line block ×4, first 2 shown]
	v_sub_u32_e32 v3, v3, v9
	v_mul_lo_u32 v9, v3, s47
	v_mul_lo_u32 v10, v3, s50
	;; [unrolled: 1-line block ×3, first 2 shown]
	v_add3_u32 v2, v6, v2, v9
	v_add3_u32 v4, v8, v4, v10
	;; [unrolled: 1-line block ×3, first 2 shown]
	s_cbranch_scc1 .LBB10_7
; %bb.8:
	s_bitcmp1_b32 s15, 0
	s_cselect_b64 s[40:41], -1, 0
	s_and_b64 vcc, exec, s[40:41]
	s_cbranch_vccnz .LBB10_10
; %bb.9:
	s_load_dwordx2 s[40:41], s[36:37], 0x1c
	s_load_dword s8, s[36:37], 0x24
	s_load_dwordx2 s[42:43], s[36:37], 0xdc
	s_waitcnt lgkmcnt(0)
	v_mul_hi_u32 v3, s41, v1
	v_add_u32_e32 v3, v1, v3
	v_lshrrev_b32_e32 v3, s8, v3
	v_mul_lo_u32 v3, v3, s40
	s_load_dword s8, s[36:37], 0xe4
	v_sub_u32_e32 v1, v1, v3
	v_mad_u64_u32 v[2:3], s[36:37], v1, s42, v[2:3]
	v_mad_u64_u32 v[4:5], s[36:37], v1, s43, v[4:5]
	s_waitcnt lgkmcnt(0)
	v_mad_u64_u32 v[0:1], s[36:37], v1, s8, v[0:1]
.LBB10_10:
	s_mov_b64 s[36:37], 0
.LBB10_11:
	s_andn2_b64 vcc, exec, s[36:37]
	s_cbranch_vccnz .LBB10_14
; %bb.12:
	v_mul_hi_u32 v0, s10, v7
	s_andn2_b64 vcc, exec, s[28:29]
	v_add_u32_e32 v0, v7, v0
	v_lshrrev_b32_e32 v1, s11, v0
	v_mul_lo_u32 v0, v1, s9
	v_sub_u32_e32 v0, v7, v0
	v_mul_lo_u32 v2, v0, s24
	v_mul_lo_u32 v4, v0, s25
	v_mul_lo_u32 v0, v0, s26
	s_cbranch_vccnz .LBB10_14
; %bb.13:
	v_mul_hi_u32 v3, s13, v1
	v_add_u32_e32 v3, v1, v3
	v_lshrrev_b32_e32 v3, s14, v3
	v_mul_lo_u32 v3, v3, s12
	v_sub_u32_e32 v1, v1, v3
	v_mad_u64_u32 v[2:3], s[36:37], v1, s27, v[2:3]
	v_mad_u64_u32 v[4:5], s[36:37], v1, s6, v[4:5]
	;; [unrolled: 1-line block ×3, first 2 shown]
.LBB10_14:
	s_andn2_b64 vcc, exec, s[4:5]
	s_cbranch_vccnz .LBB10_17
; %bb.15:
	s_waitcnt lgkmcnt(0)
	global_load_ubyte v8, v2, s[20:21]
	v_mov_b32_e32 v3, s21
	v_add_co_u32_e32 v1, vcc, s20, v2
	v_addc_co_u32_e32 v2, vcc, 0, v3, vcc
	v_mov_b32_e32 v5, s23
	v_add_co_u32_e32 v3, vcc, s22, v4
	v_addc_co_u32_e32 v4, vcc, 0, v5, vcc
	v_mov_b32_e32 v6, s3
	v_add_co_u32_e32 v5, vcc, s2, v0
	s_ashr_i32 s19, s18, 31
	s_ashr_i32 s36, s17, 31
	v_addc_co_u32_e32 v6, vcc, 0, v6, vcc
	s_mov_b32 s8, s17
	v_mov_b32_e32 v0, s19
	v_mov_b32_e32 v9, s36
	s_mov_b32 s19, s16
.LBB10_16:                              ; =>This Inner Loop Header: Depth=1
	global_load_ubyte v10, v[3:4], off
	global_load_ubyte v11, v[5:6], off
	v_add_co_u32_e32 v5, vcc, s18, v5
	v_addc_co_u32_e32 v6, vcc, v6, v0, vcc
	s_add_i32 s19, s19, -1
	v_add_co_u32_e32 v3, vcc, s8, v3
	v_addc_co_u32_e32 v4, vcc, v4, v9, vcc
	s_cmp_lg_u32 s19, 0
	s_waitcnt vmcnt(0)
	v_mul_lo_u16_e32 v10, v11, v10
	v_or_b32_e32 v8, v10, v8
	global_store_byte v[1:2], v8, off
	s_cbranch_scc1 .LBB10_16
.LBB10_17:
	v_add_u32_e32 v7, 0x100, v7
	s_or_b64 exec, exec, s[34:35]
	v_cmp_gt_i32_e32 vcc, s39, v7
	s_and_saveexec_b64 s[34:35], vcc
	s_cbranch_execz .LBB10_2
.LBB10_18:
	s_and_b64 vcc, exec, s[0:1]
	s_cbranch_vccnz .LBB10_25
; %bb.19:
	v_mov_b32_e32 v2, 0
	s_andn2_b64 vcc, exec, s[30:31]
	v_mov_b32_e32 v4, 0
	v_mov_b32_e32 v0, 0
	s_cbranch_vccnz .LBB10_24
; %bb.20:
	s_add_i32 s8, s15, 1
	s_and_b32 s8, s8, 30
	s_add_u32 s36, s33, 0xffffffe8
	s_addc_u32 s37, s38, -1
	v_mov_b32_e32 v0, 0
	v_mov_b32_e32 v4, 0
	;; [unrolled: 1-line block ×4, first 2 shown]
.LBB10_21:                              ; =>This Inner Loop Header: Depth=1
	s_load_dwordx4 s[40:43], s[36:37], 0x1c
	s_load_dwordx2 s[48:49], s[36:37], 0x2c
	s_load_dwordx2 s[50:51], s[36:37], 0xec
	s_load_dwordx4 s[44:47], s[36:37], 0xdc
	s_add_u32 s36, s36, 24
	s_waitcnt lgkmcnt(0)
	v_mul_hi_u32 v3, s41, v1
	s_addc_u32 s37, s37, 0
	s_add_i32 s8, s8, -2
	s_cmp_eq_u32 s8, 0
	v_add_u32_e32 v3, v1, v3
	v_lshrrev_b32_e32 v3, s42, v3
	v_mul_lo_u32 v5, v3, s40
	v_mul_hi_u32 v6, s48, v3
	v_sub_u32_e32 v5, v1, v5
	v_add_u32_e32 v1, v3, v6
	v_lshrrev_b32_e32 v1, s49, v1
	v_mul_lo_u32 v9, v1, s43
	v_mul_lo_u32 v6, v5, s44
	;; [unrolled: 1-line block ×4, first 2 shown]
	v_sub_u32_e32 v3, v3, v9
	v_mul_lo_u32 v9, v3, s47
	v_mul_lo_u32 v10, v3, s50
	;; [unrolled: 1-line block ×3, first 2 shown]
	v_add3_u32 v2, v6, v2, v9
	v_add3_u32 v4, v8, v4, v10
	;; [unrolled: 1-line block ×3, first 2 shown]
	s_cbranch_scc0 .LBB10_21
; %bb.22:
	s_bitcmp1_b32 s15, 0
	s_cselect_b64 s[40:41], -1, 0
	s_and_b64 vcc, exec, s[40:41]
	s_cbranch_vccnz .LBB10_24
; %bb.23:
	s_load_dwordx2 s[40:41], s[36:37], 0x1c
	s_load_dword s8, s[36:37], 0x24
	s_load_dwordx2 s[42:43], s[36:37], 0xdc
	s_waitcnt lgkmcnt(0)
	v_mul_hi_u32 v3, s41, v1
	v_add_u32_e32 v3, v1, v3
	v_lshrrev_b32_e32 v3, s8, v3
	v_mul_lo_u32 v3, v3, s40
	s_load_dword s8, s[36:37], 0xe4
	v_sub_u32_e32 v1, v1, v3
	v_mad_u64_u32 v[2:3], s[36:37], v1, s42, v[2:3]
	v_mad_u64_u32 v[4:5], s[36:37], v1, s43, v[4:5]
	s_waitcnt lgkmcnt(0)
	v_mad_u64_u32 v[0:1], s[36:37], v1, s8, v[0:1]
.LBB10_24:
	s_cbranch_execz .LBB10_26
	s_branch .LBB10_28
.LBB10_25:
                                        ; implicit-def: $vgpr2
                                        ; implicit-def: $vgpr4
                                        ; implicit-def: $vgpr0
.LBB10_26:
	v_mul_hi_u32 v0, s10, v7
	s_andn2_b64 vcc, exec, s[28:29]
	v_add_u32_e32 v0, v7, v0
	v_lshrrev_b32_e32 v1, s11, v0
	v_mul_lo_u32 v0, v1, s9
	v_sub_u32_e32 v0, v7, v0
	v_mul_lo_u32 v2, v0, s24
	v_mul_lo_u32 v4, v0, s25
	;; [unrolled: 1-line block ×3, first 2 shown]
	s_cbranch_vccnz .LBB10_28
; %bb.27:
	v_mul_hi_u32 v3, s13, v1
	v_add_u32_e32 v3, v1, v3
	v_lshrrev_b32_e32 v3, s14, v3
	v_mul_lo_u32 v3, v3, s12
	v_sub_u32_e32 v1, v1, v3
	v_mad_u64_u32 v[2:3], s[36:37], v1, s27, v[2:3]
	v_mad_u64_u32 v[4:5], s[36:37], v1, s6, v[4:5]
	;; [unrolled: 1-line block ×3, first 2 shown]
.LBB10_28:
	s_andn2_b64 vcc, exec, s[4:5]
	s_cbranch_vccnz .LBB10_31
; %bb.29:
	s_waitcnt lgkmcnt(0)
	global_load_ubyte v8, v2, s[20:21]
	v_mov_b32_e32 v3, s21
	v_add_co_u32_e32 v1, vcc, s20, v2
	v_addc_co_u32_e32 v2, vcc, 0, v3, vcc
	v_mov_b32_e32 v5, s23
	v_add_co_u32_e32 v3, vcc, s22, v4
	v_addc_co_u32_e32 v4, vcc, 0, v5, vcc
	v_mov_b32_e32 v6, s3
	v_add_co_u32_e32 v5, vcc, s2, v0
	s_ashr_i32 s19, s18, 31
	s_ashr_i32 s36, s17, 31
	v_addc_co_u32_e32 v6, vcc, 0, v6, vcc
	s_mov_b32 s8, s17
	v_mov_b32_e32 v0, s19
	v_mov_b32_e32 v9, s36
	s_mov_b32 s19, s16
.LBB10_30:                              ; =>This Inner Loop Header: Depth=1
	global_load_ubyte v10, v[3:4], off
	global_load_ubyte v11, v[5:6], off
	v_add_co_u32_e32 v5, vcc, s18, v5
	v_addc_co_u32_e32 v6, vcc, v6, v0, vcc
	s_add_i32 s19, s19, -1
	v_add_co_u32_e32 v3, vcc, s8, v3
	v_addc_co_u32_e32 v4, vcc, v4, v9, vcc
	s_cmp_lg_u32 s19, 0
	s_waitcnt vmcnt(0)
	v_mul_lo_u16_e32 v10, v11, v10
	v_or_b32_e32 v8, v10, v8
	global_store_byte v[1:2], v8, off
	s_cbranch_scc1 .LBB10_30
.LBB10_31:
	v_add_u32_e32 v7, 0x100, v7
	s_or_b64 exec, exec, s[34:35]
	v_cmp_gt_i32_e32 vcc, s39, v7
	s_and_saveexec_b64 s[34:35], vcc
	s_cbranch_execz .LBB10_3
.LBB10_32:
	s_and_b64 vcc, exec, s[0:1]
	s_cbranch_vccnz .LBB10_39
; %bb.33:
	v_mov_b32_e32 v2, 0
	s_andn2_b64 vcc, exec, s[30:31]
	v_mov_b32_e32 v4, 0
	v_mov_b32_e32 v0, 0
	s_cbranch_vccnz .LBB10_38
; %bb.34:
	s_add_i32 s8, s15, 1
	s_and_b32 s8, s8, 30
	s_add_u32 s36, s33, 0xffffffe8
	s_addc_u32 s37, s38, -1
	v_mov_b32_e32 v0, 0
	v_mov_b32_e32 v4, 0
	v_mov_b32_e32 v2, 0
	v_mov_b32_e32 v1, v7
.LBB10_35:                              ; =>This Inner Loop Header: Depth=1
	s_load_dwordx4 s[40:43], s[36:37], 0x1c
	s_load_dwordx2 s[48:49], s[36:37], 0x2c
	s_load_dwordx2 s[50:51], s[36:37], 0xec
	s_load_dwordx4 s[44:47], s[36:37], 0xdc
	s_add_u32 s36, s36, 24
	s_waitcnt lgkmcnt(0)
	v_mul_hi_u32 v3, s41, v1
	s_addc_u32 s37, s37, 0
	s_add_i32 s8, s8, -2
	s_cmp_eq_u32 s8, 0
	v_add_u32_e32 v3, v1, v3
	v_lshrrev_b32_e32 v3, s42, v3
	v_mul_lo_u32 v5, v3, s40
	v_mul_hi_u32 v6, s48, v3
	v_sub_u32_e32 v5, v1, v5
	v_add_u32_e32 v1, v3, v6
	v_lshrrev_b32_e32 v1, s49, v1
	v_mul_lo_u32 v9, v1, s43
	v_mul_lo_u32 v6, v5, s44
	;; [unrolled: 1-line block ×4, first 2 shown]
	v_sub_u32_e32 v3, v3, v9
	v_mul_lo_u32 v9, v3, s47
	v_mul_lo_u32 v10, v3, s50
	;; [unrolled: 1-line block ×3, first 2 shown]
	v_add3_u32 v2, v6, v2, v9
	v_add3_u32 v4, v8, v4, v10
	;; [unrolled: 1-line block ×3, first 2 shown]
	s_cbranch_scc0 .LBB10_35
; %bb.36:
	s_bitcmp1_b32 s15, 0
	s_cselect_b64 s[40:41], -1, 0
	s_and_b64 vcc, exec, s[40:41]
	s_cbranch_vccnz .LBB10_38
; %bb.37:
	s_load_dwordx2 s[40:41], s[36:37], 0x1c
	s_load_dword s8, s[36:37], 0x24
	s_load_dwordx2 s[42:43], s[36:37], 0xdc
	s_waitcnt lgkmcnt(0)
	v_mul_hi_u32 v3, s41, v1
	v_add_u32_e32 v3, v1, v3
	v_lshrrev_b32_e32 v3, s8, v3
	v_mul_lo_u32 v3, v3, s40
	s_load_dword s8, s[36:37], 0xe4
	v_sub_u32_e32 v1, v1, v3
	v_mad_u64_u32 v[2:3], s[36:37], v1, s42, v[2:3]
	v_mad_u64_u32 v[4:5], s[36:37], v1, s43, v[4:5]
	s_waitcnt lgkmcnt(0)
	v_mad_u64_u32 v[0:1], s[36:37], v1, s8, v[0:1]
.LBB10_38:
	s_cbranch_execz .LBB10_40
	s_branch .LBB10_42
.LBB10_39:
                                        ; implicit-def: $vgpr2
                                        ; implicit-def: $vgpr4
                                        ; implicit-def: $vgpr0
.LBB10_40:
	v_mul_hi_u32 v0, s10, v7
	s_andn2_b64 vcc, exec, s[28:29]
	v_add_u32_e32 v0, v7, v0
	v_lshrrev_b32_e32 v1, s11, v0
	v_mul_lo_u32 v0, v1, s9
	v_sub_u32_e32 v0, v7, v0
	v_mul_lo_u32 v2, v0, s24
	v_mul_lo_u32 v4, v0, s25
	;; [unrolled: 1-line block ×3, first 2 shown]
	s_cbranch_vccnz .LBB10_42
; %bb.41:
	v_mul_hi_u32 v3, s13, v1
	v_add_u32_e32 v3, v1, v3
	v_lshrrev_b32_e32 v3, s14, v3
	v_mul_lo_u32 v3, v3, s12
	v_sub_u32_e32 v1, v1, v3
	v_mad_u64_u32 v[2:3], s[36:37], v1, s27, v[2:3]
	v_mad_u64_u32 v[4:5], s[36:37], v1, s6, v[4:5]
	;; [unrolled: 1-line block ×3, first 2 shown]
.LBB10_42:
	s_andn2_b64 vcc, exec, s[4:5]
	s_cbranch_vccnz .LBB10_45
; %bb.43:
	s_waitcnt lgkmcnt(0)
	global_load_ubyte v8, v2, s[20:21]
	v_mov_b32_e32 v3, s21
	v_add_co_u32_e32 v1, vcc, s20, v2
	v_addc_co_u32_e32 v2, vcc, 0, v3, vcc
	v_mov_b32_e32 v5, s23
	v_add_co_u32_e32 v3, vcc, s22, v4
	v_addc_co_u32_e32 v4, vcc, 0, v5, vcc
	v_mov_b32_e32 v6, s3
	v_add_co_u32_e32 v5, vcc, s2, v0
	s_ashr_i32 s19, s18, 31
	s_ashr_i32 s36, s17, 31
	v_addc_co_u32_e32 v6, vcc, 0, v6, vcc
	s_mov_b32 s8, s17
	v_mov_b32_e32 v0, s19
	v_mov_b32_e32 v9, s36
	s_mov_b32 s19, s16
.LBB10_44:                              ; =>This Inner Loop Header: Depth=1
	global_load_ubyte v10, v[3:4], off
	global_load_ubyte v11, v[5:6], off
	v_add_co_u32_e32 v5, vcc, s18, v5
	v_addc_co_u32_e32 v6, vcc, v6, v0, vcc
	s_add_i32 s19, s19, -1
	v_add_co_u32_e32 v3, vcc, s8, v3
	v_addc_co_u32_e32 v4, vcc, v4, v9, vcc
	s_cmp_lg_u32 s19, 0
	s_waitcnt vmcnt(0)
	v_mul_lo_u16_e32 v10, v11, v10
	v_or_b32_e32 v8, v10, v8
	global_store_byte v[1:2], v8, off
	s_cbranch_scc1 .LBB10_44
.LBB10_45:
	v_add_u32_e32 v7, 0x100, v7
	s_or_b64 exec, exec, s[34:35]
	v_cmp_gt_i32_e32 vcc, s39, v7
	s_and_saveexec_b64 s[34:35], vcc
	s_cbranch_execz .LBB10_59
.LBB10_46:
	s_and_b64 vcc, exec, s[0:1]
	s_cbranch_vccnz .LBB10_53
; %bb.47:
	v_mov_b32_e32 v2, 0
	s_andn2_b64 vcc, exec, s[30:31]
	v_mov_b32_e32 v4, 0
	v_mov_b32_e32 v0, 0
	s_cbranch_vccnz .LBB10_52
; %bb.48:
	s_add_i32 s0, s15, 1
	s_and_b32 s8, s0, 30
	s_add_u32 s0, s33, 0xffffffe8
	s_addc_u32 s1, s38, -1
	v_mov_b32_e32 v0, 0
	v_mov_b32_e32 v4, 0
	;; [unrolled: 1-line block ×4, first 2 shown]
.LBB10_49:                              ; =>This Inner Loop Header: Depth=1
	s_load_dwordx4 s[36:39], s[0:1], 0x1c
	s_load_dwordx2 s[30:31], s[0:1], 0x2c
	s_load_dwordx2 s[34:35], s[0:1], 0xec
	s_load_dwordx4 s[40:43], s[0:1], 0xdc
	s_add_u32 s0, s0, 24
	s_waitcnt lgkmcnt(0)
	v_mul_hi_u32 v3, s37, v1
	s_addc_u32 s1, s1, 0
	s_add_i32 s8, s8, -2
	s_cmp_eq_u32 s8, 0
	v_add_u32_e32 v3, v1, v3
	v_lshrrev_b32_e32 v3, s38, v3
	v_mul_lo_u32 v5, v3, s36
	v_mul_hi_u32 v6, s30, v3
	v_sub_u32_e32 v5, v1, v5
	v_add_u32_e32 v1, v3, v6
	v_lshrrev_b32_e32 v1, s31, v1
	v_mul_lo_u32 v9, v1, s39
	v_mul_lo_u32 v6, v5, s40
	;; [unrolled: 1-line block ×4, first 2 shown]
	v_sub_u32_e32 v3, v3, v9
	v_mul_lo_u32 v9, v3, s43
	v_mul_lo_u32 v10, v3, s34
	v_mul_lo_u32 v3, v3, s35
	v_add3_u32 v2, v6, v2, v9
	v_add3_u32 v4, v8, v4, v10
	v_add3_u32 v0, v5, v0, v3
	s_cbranch_scc0 .LBB10_49
; %bb.50:
	s_bitcmp1_b32 s15, 0
	s_cselect_b64 s[30:31], -1, 0
	s_and_b64 vcc, exec, s[30:31]
	s_cbranch_vccnz .LBB10_52
; %bb.51:
	s_load_dwordx2 s[30:31], s[0:1], 0x1c
	s_load_dword s8, s[0:1], 0x24
	s_load_dwordx2 s[34:35], s[0:1], 0xdc
	s_waitcnt lgkmcnt(0)
	v_mul_hi_u32 v3, s31, v1
	v_add_u32_e32 v3, v1, v3
	v_lshrrev_b32_e32 v3, s8, v3
	v_mul_lo_u32 v3, v3, s30
	s_load_dword s8, s[0:1], 0xe4
	v_sub_u32_e32 v1, v1, v3
	v_mad_u64_u32 v[2:3], s[0:1], v1, s34, v[2:3]
	v_mad_u64_u32 v[4:5], s[0:1], v1, s35, v[4:5]
	s_waitcnt lgkmcnt(0)
	v_mad_u64_u32 v[0:1], s[0:1], v1, s8, v[0:1]
.LBB10_52:
	s_cbranch_execz .LBB10_54
	s_branch .LBB10_56
.LBB10_53:
                                        ; implicit-def: $vgpr2
                                        ; implicit-def: $vgpr4
                                        ; implicit-def: $vgpr0
.LBB10_54:
	v_mul_hi_u32 v0, s10, v7
	s_andn2_b64 vcc, exec, s[28:29]
	v_add_u32_e32 v0, v7, v0
	v_lshrrev_b32_e32 v1, s11, v0
	v_mul_lo_u32 v0, v1, s9
	v_sub_u32_e32 v0, v7, v0
	v_mul_lo_u32 v2, v0, s24
	v_mul_lo_u32 v4, v0, s25
	;; [unrolled: 1-line block ×3, first 2 shown]
	s_cbranch_vccnz .LBB10_56
; %bb.55:
	v_mul_hi_u32 v3, s13, v1
	v_add_u32_e32 v3, v1, v3
	v_lshrrev_b32_e32 v3, s14, v3
	v_mul_lo_u32 v3, v3, s12
	v_sub_u32_e32 v1, v1, v3
	v_mad_u64_u32 v[2:3], s[0:1], v1, s27, v[2:3]
	v_mad_u64_u32 v[4:5], s[0:1], v1, s6, v[4:5]
	;; [unrolled: 1-line block ×3, first 2 shown]
.LBB10_56:
	s_andn2_b64 vcc, exec, s[4:5]
	s_cbranch_vccnz .LBB10_59
; %bb.57:
	s_waitcnt lgkmcnt(0)
	global_load_ubyte v7, v2, s[20:21]
	v_mov_b32_e32 v3, s21
	v_add_co_u32_e32 v1, vcc, s20, v2
	v_addc_co_u32_e32 v2, vcc, 0, v3, vcc
	v_mov_b32_e32 v5, s23
	v_add_co_u32_e32 v3, vcc, s22, v4
	v_addc_co_u32_e32 v4, vcc, 0, v5, vcc
	v_mov_b32_e32 v6, s3
	v_add_co_u32_e32 v5, vcc, s2, v0
	s_ashr_i32 s1, s18, 31
	s_ashr_i32 s2, s17, 31
	v_addc_co_u32_e32 v6, vcc, 0, v6, vcc
	s_mov_b32 s0, s17
	v_mov_b32_e32 v0, s1
	v_mov_b32_e32 v8, s2
.LBB10_58:                              ; =>This Inner Loop Header: Depth=1
	global_load_ubyte v9, v[3:4], off
	global_load_ubyte v10, v[5:6], off
	v_add_co_u32_e32 v5, vcc, s18, v5
	v_addc_co_u32_e32 v6, vcc, v6, v0, vcc
	s_add_i32 s16, s16, -1
	v_add_co_u32_e32 v3, vcc, s0, v3
	v_addc_co_u32_e32 v4, vcc, v4, v8, vcc
	s_cmp_lg_u32 s16, 0
	s_waitcnt vmcnt(0)
	v_mul_lo_u16_e32 v9, v10, v9
	v_or_b32_e32 v7, v9, v7
	global_store_byte v[1:2], v7, off
	s_cbranch_scc1 .LBB10_58
.LBB10_59:
	s_endpgm
	.section	.rodata,"a",@progbits
	.p2align	6, 0x0
	.amdhsa_kernel _ZN2at6native12_GLOBAL__N_116_elemwise_kernelILi256ELi4EZNS1_43_compute_linear_combination_internal_kernelIbEEvRNS_14TensorIteratorEiiiEUliE_EEviT1_
		.amdhsa_group_segment_fixed_size 0
		.amdhsa_private_segment_fixed_size 0
		.amdhsa_kernarg_size 440
		.amdhsa_user_sgpr_count 6
		.amdhsa_user_sgpr_private_segment_buffer 1
		.amdhsa_user_sgpr_dispatch_ptr 0
		.amdhsa_user_sgpr_queue_ptr 0
		.amdhsa_user_sgpr_kernarg_segment_ptr 1
		.amdhsa_user_sgpr_dispatch_id 0
		.amdhsa_user_sgpr_flat_scratch_init 0
		.amdhsa_user_sgpr_private_segment_size 0
		.amdhsa_uses_dynamic_stack 0
		.amdhsa_system_sgpr_private_segment_wavefront_offset 0
		.amdhsa_system_sgpr_workgroup_id_x 1
		.amdhsa_system_sgpr_workgroup_id_y 0
		.amdhsa_system_sgpr_workgroup_id_z 0
		.amdhsa_system_sgpr_workgroup_info 0
		.amdhsa_system_vgpr_workitem_id 0
		.amdhsa_next_free_vgpr 12
		.amdhsa_next_free_sgpr 52
		.amdhsa_reserve_vcc 1
		.amdhsa_reserve_flat_scratch 0
		.amdhsa_float_round_mode_32 0
		.amdhsa_float_round_mode_16_64 0
		.amdhsa_float_denorm_mode_32 3
		.amdhsa_float_denorm_mode_16_64 3
		.amdhsa_dx10_clamp 1
		.amdhsa_ieee_mode 1
		.amdhsa_fp16_overflow 0
		.amdhsa_exception_fp_ieee_invalid_op 0
		.amdhsa_exception_fp_denorm_src 0
		.amdhsa_exception_fp_ieee_div_zero 0
		.amdhsa_exception_fp_ieee_overflow 0
		.amdhsa_exception_fp_ieee_underflow 0
		.amdhsa_exception_fp_ieee_inexact 0
		.amdhsa_exception_int_div_zero 0
	.end_amdhsa_kernel
	.section	.text._ZN2at6native12_GLOBAL__N_116_elemwise_kernelILi256ELi4EZNS1_43_compute_linear_combination_internal_kernelIbEEvRNS_14TensorIteratorEiiiEUliE_EEviT1_,"axG",@progbits,_ZN2at6native12_GLOBAL__N_116_elemwise_kernelILi256ELi4EZNS1_43_compute_linear_combination_internal_kernelIbEEvRNS_14TensorIteratorEiiiEUliE_EEviT1_,comdat
.Lfunc_end10:
	.size	_ZN2at6native12_GLOBAL__N_116_elemwise_kernelILi256ELi4EZNS1_43_compute_linear_combination_internal_kernelIbEEvRNS_14TensorIteratorEiiiEUliE_EEviT1_, .Lfunc_end10-_ZN2at6native12_GLOBAL__N_116_elemwise_kernelILi256ELi4EZNS1_43_compute_linear_combination_internal_kernelIbEEvRNS_14TensorIteratorEiiiEUliE_EEviT1_
                                        ; -- End function
	.set _ZN2at6native12_GLOBAL__N_116_elemwise_kernelILi256ELi4EZNS1_43_compute_linear_combination_internal_kernelIbEEvRNS_14TensorIteratorEiiiEUliE_EEviT1_.num_vgpr, 12
	.set _ZN2at6native12_GLOBAL__N_116_elemwise_kernelILi256ELi4EZNS1_43_compute_linear_combination_internal_kernelIbEEvRNS_14TensorIteratorEiiiEUliE_EEviT1_.num_agpr, 0
	.set _ZN2at6native12_GLOBAL__N_116_elemwise_kernelILi256ELi4EZNS1_43_compute_linear_combination_internal_kernelIbEEvRNS_14TensorIteratorEiiiEUliE_EEviT1_.numbered_sgpr, 52
	.set _ZN2at6native12_GLOBAL__N_116_elemwise_kernelILi256ELi4EZNS1_43_compute_linear_combination_internal_kernelIbEEvRNS_14TensorIteratorEiiiEUliE_EEviT1_.num_named_barrier, 0
	.set _ZN2at6native12_GLOBAL__N_116_elemwise_kernelILi256ELi4EZNS1_43_compute_linear_combination_internal_kernelIbEEvRNS_14TensorIteratorEiiiEUliE_EEviT1_.private_seg_size, 0
	.set _ZN2at6native12_GLOBAL__N_116_elemwise_kernelILi256ELi4EZNS1_43_compute_linear_combination_internal_kernelIbEEvRNS_14TensorIteratorEiiiEUliE_EEviT1_.uses_vcc, 1
	.set _ZN2at6native12_GLOBAL__N_116_elemwise_kernelILi256ELi4EZNS1_43_compute_linear_combination_internal_kernelIbEEvRNS_14TensorIteratorEiiiEUliE_EEviT1_.uses_flat_scratch, 0
	.set _ZN2at6native12_GLOBAL__N_116_elemwise_kernelILi256ELi4EZNS1_43_compute_linear_combination_internal_kernelIbEEvRNS_14TensorIteratorEiiiEUliE_EEviT1_.has_dyn_sized_stack, 0
	.set _ZN2at6native12_GLOBAL__N_116_elemwise_kernelILi256ELi4EZNS1_43_compute_linear_combination_internal_kernelIbEEvRNS_14TensorIteratorEiiiEUliE_EEviT1_.has_recursion, 0
	.set _ZN2at6native12_GLOBAL__N_116_elemwise_kernelILi256ELi4EZNS1_43_compute_linear_combination_internal_kernelIbEEvRNS_14TensorIteratorEiiiEUliE_EEviT1_.has_indirect_call, 0
	.section	.AMDGPU.csdata,"",@progbits
; Kernel info:
; codeLenInByte = 2760
; TotalNumSgprs: 56
; NumVgprs: 12
; ScratchSize: 0
; MemoryBound: 0
; FloatMode: 240
; IeeeMode: 1
; LDSByteSize: 0 bytes/workgroup (compile time only)
; SGPRBlocks: 6
; VGPRBlocks: 2
; NumSGPRsForWavesPerEU: 56
; NumVGPRsForWavesPerEU: 12
; Occupancy: 10
; WaveLimiterHint : 1
; COMPUTE_PGM_RSRC2:SCRATCH_EN: 0
; COMPUTE_PGM_RSRC2:USER_SGPR: 6
; COMPUTE_PGM_RSRC2:TRAP_HANDLER: 0
; COMPUTE_PGM_RSRC2:TGID_X_EN: 1
; COMPUTE_PGM_RSRC2:TGID_Y_EN: 0
; COMPUTE_PGM_RSRC2:TGID_Z_EN: 0
; COMPUTE_PGM_RSRC2:TIDIG_COMP_CNT: 0
	.section	.text._ZN2at6native12_GLOBAL__N_116_elemwise_kernelILi256ELi4EZNS1_43_compute_linear_combination_internal_kernelIN3c108BFloat16EEEvRNS_14TensorIteratorEiiiEUliE_EEviT1_,"axG",@progbits,_ZN2at6native12_GLOBAL__N_116_elemwise_kernelILi256ELi4EZNS1_43_compute_linear_combination_internal_kernelIN3c108BFloat16EEEvRNS_14TensorIteratorEiiiEUliE_EEviT1_,comdat
	.globl	_ZN2at6native12_GLOBAL__N_116_elemwise_kernelILi256ELi4EZNS1_43_compute_linear_combination_internal_kernelIN3c108BFloat16EEEvRNS_14TensorIteratorEiiiEUliE_EEviT1_ ; -- Begin function _ZN2at6native12_GLOBAL__N_116_elemwise_kernelILi256ELi4EZNS1_43_compute_linear_combination_internal_kernelIN3c108BFloat16EEEvRNS_14TensorIteratorEiiiEUliE_EEviT1_
	.p2align	8
	.type	_ZN2at6native12_GLOBAL__N_116_elemwise_kernelILi256ELi4EZNS1_43_compute_linear_combination_internal_kernelIN3c108BFloat16EEEvRNS_14TensorIteratorEiiiEUliE_EEviT1_,@function
_ZN2at6native12_GLOBAL__N_116_elemwise_kernelILi256ELi4EZNS1_43_compute_linear_combination_internal_kernelIN3c108BFloat16EEEvRNS_14TensorIteratorEiiiEUliE_EEviT1_: ; @_ZN2at6native12_GLOBAL__N_116_elemwise_kernelILi256ELi4EZNS1_43_compute_linear_combination_internal_kernelIN3c108BFloat16EEEvRNS_14TensorIteratorEiiiEUliE_EEviT1_
; %bb.0:
	s_load_dword s41, s[4:5], 0x0
	s_load_dwordx8 s[8:15], s[4:5], 0x8
	v_lshl_or_b32 v7, s6, 10, v0
	s_load_dwordx4 s[24:27], s[4:5], 0xcc
	s_load_dwordx2 s[6:7], s[4:5], 0xdc
	s_load_dwordx4 s[16:19], s[4:5], 0x1a8
	s_add_u32 s33, s4, 8
	s_addc_u32 s40, s5, 0
	s_waitcnt lgkmcnt(0)
	v_sub_co_u32_e64 v0, s[0:1], s8, 1
	s_xor_b64 s[30:31], s[0:1], -1
	v_readfirstlane_b32 s0, v0
	s_load_dwordx2 s[2:3], s[4:5], 0x1a0
	s_load_dwordx4 s[20:23], s[4:5], 0x190
	s_min_u32 s15, s0, 15
	s_cmp_gt_u32 s8, 1
	v_cmp_lt_u32_e64 s[0:1], 1, v0
	s_cselect_b64 s[28:29], -1, 0
	s_cmp_gt_i32 s16, 0
	v_cndmask_b32_e64 v0, 0, 1, s[0:1]
	s_mov_b64 s[36:37], -1
	s_cselect_b64 s[4:5], -1, 0
	v_cmp_gt_i32_e32 vcc, s41, v7
	v_cmp_ne_u32_e64 s[0:1], 1, v0
	s_and_saveexec_b64 s[34:35], vcc
	s_cbranch_execnz .LBB11_4
; %bb.1:
	s_or_b64 exec, exec, s[34:35]
	v_cmp_gt_i32_e32 vcc, s41, v7
	s_and_saveexec_b64 s[34:35], vcc
	s_cbranch_execnz .LBB11_18
.LBB11_2:
	s_or_b64 exec, exec, s[34:35]
	v_cmp_gt_i32_e32 vcc, s41, v7
	s_and_saveexec_b64 s[34:35], vcc
	s_cbranch_execnz .LBB11_32
.LBB11_3:
	s_or_b64 exec, exec, s[34:35]
	v_cmp_gt_i32_e32 vcc, s41, v7
	s_and_saveexec_b64 s[34:35], vcc
	s_cbranch_execnz .LBB11_46
	s_branch .LBB11_59
.LBB11_4:
	s_and_b64 vcc, exec, s[0:1]
                                        ; implicit-def: $vgpr2
                                        ; implicit-def: $vgpr4
                                        ; implicit-def: $vgpr0
	s_cbranch_vccnz .LBB11_11
; %bb.5:
	v_mov_b32_e32 v2, 0
	s_andn2_b64 vcc, exec, s[30:31]
	v_mov_b32_e32 v4, 0
	v_mov_b32_e32 v0, 0
	s_cbranch_vccnz .LBB11_10
; %bb.6:
	s_add_i32 s8, s15, 1
	s_and_b32 s8, s8, 30
	s_add_u32 s36, s33, 0xffffffe8
	s_addc_u32 s37, s40, -1
	v_mov_b32_e32 v0, 0
	v_mov_b32_e32 v4, 0
	;; [unrolled: 1-line block ×4, first 2 shown]
.LBB11_7:                               ; =>This Inner Loop Header: Depth=1
	s_load_dwordx4 s[44:47], s[36:37], 0x1c
	s_load_dwordx2 s[38:39], s[36:37], 0x2c
	s_load_dwordx2 s[42:43], s[36:37], 0xec
	s_load_dwordx4 s[48:51], s[36:37], 0xdc
	s_add_u32 s36, s36, 24
	s_waitcnt lgkmcnt(0)
	v_mul_hi_u32 v3, s45, v1
	s_addc_u32 s37, s37, 0
	s_add_i32 s8, s8, -2
	s_cmp_lg_u32 s8, 0
	v_add_u32_e32 v3, v1, v3
	v_lshrrev_b32_e32 v3, s46, v3
	v_mul_lo_u32 v5, v3, s44
	v_mul_hi_u32 v6, s38, v3
	v_sub_u32_e32 v5, v1, v5
	v_add_u32_e32 v1, v3, v6
	v_lshrrev_b32_e32 v1, s39, v1
	v_mul_lo_u32 v9, v1, s47
	v_mul_lo_u32 v6, v5, s48
	;; [unrolled: 1-line block ×4, first 2 shown]
	v_sub_u32_e32 v3, v3, v9
	v_mul_lo_u32 v9, v3, s51
	v_mul_lo_u32 v10, v3, s42
	;; [unrolled: 1-line block ×3, first 2 shown]
	v_add3_u32 v2, v6, v2, v9
	v_add3_u32 v4, v8, v4, v10
	;; [unrolled: 1-line block ×3, first 2 shown]
	s_cbranch_scc1 .LBB11_7
; %bb.8:
	s_bitcmp1_b32 s15, 0
	s_cselect_b64 s[38:39], -1, 0
	s_and_b64 vcc, exec, s[38:39]
	s_cbranch_vccnz .LBB11_10
; %bb.9:
	s_load_dwordx2 s[38:39], s[36:37], 0x1c
	s_load_dword s8, s[36:37], 0x24
	s_load_dwordx2 s[42:43], s[36:37], 0xdc
	s_waitcnt lgkmcnt(0)
	v_mul_hi_u32 v3, s39, v1
	v_add_u32_e32 v3, v1, v3
	v_lshrrev_b32_e32 v3, s8, v3
	v_mul_lo_u32 v3, v3, s38
	s_load_dword s8, s[36:37], 0xe4
	v_sub_u32_e32 v1, v1, v3
	v_mad_u64_u32 v[2:3], s[36:37], v1, s42, v[2:3]
	v_mad_u64_u32 v[4:5], s[36:37], v1, s43, v[4:5]
	s_waitcnt lgkmcnt(0)
	v_mad_u64_u32 v[0:1], s[36:37], v1, s8, v[0:1]
.LBB11_10:
	s_mov_b64 s[36:37], 0
.LBB11_11:
	s_andn2_b64 vcc, exec, s[36:37]
	s_cbranch_vccnz .LBB11_14
; %bb.12:
	v_mul_hi_u32 v0, s10, v7
	s_andn2_b64 vcc, exec, s[28:29]
	v_add_u32_e32 v0, v7, v0
	v_lshrrev_b32_e32 v1, s11, v0
	v_mul_lo_u32 v0, v1, s9
	v_sub_u32_e32 v0, v7, v0
	v_mul_lo_u32 v2, v0, s24
	v_mul_lo_u32 v4, v0, s25
	;; [unrolled: 1-line block ×3, first 2 shown]
	s_cbranch_vccnz .LBB11_14
; %bb.13:
	v_mul_hi_u32 v3, s13, v1
	v_add_u32_e32 v3, v1, v3
	v_lshrrev_b32_e32 v3, s14, v3
	v_mul_lo_u32 v3, v3, s12
	v_sub_u32_e32 v1, v1, v3
	v_mad_u64_u32 v[2:3], s[36:37], v1, s27, v[2:3]
	v_mad_u64_u32 v[4:5], s[36:37], v1, s6, v[4:5]
	;; [unrolled: 1-line block ×3, first 2 shown]
.LBB11_14:
	s_andn2_b64 vcc, exec, s[4:5]
	s_cbranch_vccnz .LBB11_17
; %bb.15:
	s_waitcnt lgkmcnt(0)
	global_load_ushort v11, v2, s[20:21]
	v_mov_b32_e32 v3, s21
	v_add_co_u32_e32 v1, vcc, s20, v2
	v_addc_co_u32_e32 v2, vcc, 0, v3, vcc
	v_mov_b32_e32 v5, s23
	v_add_co_u32_e32 v3, vcc, s22, v4
	v_addc_co_u32_e32 v4, vcc, 0, v5, vcc
	s_ashr_i32 s19, s18, 31
	s_ashr_i32 s39, s17, 31
	s_mov_b32 s38, s17
	v_mov_b32_e32 v6, s3
	v_add_co_u32_e32 v5, vcc, s2, v0
	s_lshl_b64 s[36:37], s[18:19], 1
	s_lshl_b64 s[38:39], s[38:39], 1
	v_addc_co_u32_e32 v6, vcc, 0, v6, vcc
	s_movk_i32 s8, 0x7fff
	v_mov_b32_e32 v0, 0x7fc00000
	v_mov_b32_e32 v8, 0x7fc0
	;; [unrolled: 1-line block ×4, first 2 shown]
	s_mov_b32 s19, s16
.LBB11_16:                              ; =>This Inner Loop Header: Depth=1
	global_load_ushort v12, v[5:6], off
	global_load_ushort v13, v[3:4], off
	v_add_co_u32_e32 v5, vcc, s36, v5
	v_addc_co_u32_e32 v6, vcc, v6, v9, vcc
	v_add_co_u32_e32 v3, vcc, s38, v3
	v_addc_co_u32_e32 v4, vcc, v4, v10, vcc
	s_waitcnt vmcnt(2)
	v_lshlrev_b32_e32 v11, 16, v11
	s_add_i32 s19, s19, -1
	s_cmp_lg_u32 s19, 0
	s_waitcnt vmcnt(1)
	v_lshlrev_b32_e32 v12, 16, v12
	s_waitcnt vmcnt(0)
	v_lshlrev_b32_e32 v13, 16, v13
	v_mul_f32_e32 v12, v13, v12
	v_bfe_u32 v13, v12, 16, 1
	v_add3_u32 v13, v12, v13, s8
	v_and_b32_e32 v13, 0xffff0000, v13
	v_cmp_o_f32_e32 vcc, v12, v12
	v_cndmask_b32_e32 v12, v0, v13, vcc
	v_add_f32_e32 v11, v12, v11
	v_bfe_u32 v12, v11, 16, 1
	v_add3_u32 v12, v11, v12, s8
	v_lshrrev_b32_e32 v12, 16, v12
	v_cmp_o_f32_e32 vcc, v11, v11
	v_cndmask_b32_e32 v11, v8, v12, vcc
	global_store_short v[1:2], v11, off
	s_cbranch_scc1 .LBB11_16
.LBB11_17:
	v_add_u32_e32 v7, 0x100, v7
	s_or_b64 exec, exec, s[34:35]
	v_cmp_gt_i32_e32 vcc, s41, v7
	s_and_saveexec_b64 s[34:35], vcc
	s_cbranch_execz .LBB11_2
.LBB11_18:
	s_and_b64 vcc, exec, s[0:1]
	s_cbranch_vccnz .LBB11_25
; %bb.19:
	v_mov_b32_e32 v2, 0
	s_andn2_b64 vcc, exec, s[30:31]
	v_mov_b32_e32 v4, 0
	v_mov_b32_e32 v0, 0
	s_cbranch_vccnz .LBB11_24
; %bb.20:
	s_add_i32 s8, s15, 1
	s_and_b32 s8, s8, 30
	s_add_u32 s36, s33, 0xffffffe8
	s_addc_u32 s37, s40, -1
	v_mov_b32_e32 v0, 0
	v_mov_b32_e32 v4, 0
	;; [unrolled: 1-line block ×4, first 2 shown]
.LBB11_21:                              ; =>This Inner Loop Header: Depth=1
	s_load_dwordx4 s[44:47], s[36:37], 0x1c
	s_load_dwordx2 s[38:39], s[36:37], 0x2c
	s_load_dwordx2 s[42:43], s[36:37], 0xec
	s_load_dwordx4 s[48:51], s[36:37], 0xdc
	s_add_u32 s36, s36, 24
	s_waitcnt lgkmcnt(0)
	v_mul_hi_u32 v3, s45, v1
	s_addc_u32 s37, s37, 0
	s_add_i32 s8, s8, -2
	s_cmp_eq_u32 s8, 0
	v_add_u32_e32 v3, v1, v3
	v_lshrrev_b32_e32 v3, s46, v3
	v_mul_lo_u32 v5, v3, s44
	v_mul_hi_u32 v6, s38, v3
	v_sub_u32_e32 v5, v1, v5
	v_add_u32_e32 v1, v3, v6
	v_lshrrev_b32_e32 v1, s39, v1
	v_mul_lo_u32 v9, v1, s47
	v_mul_lo_u32 v6, v5, s48
	;; [unrolled: 1-line block ×4, first 2 shown]
	v_sub_u32_e32 v3, v3, v9
	v_mul_lo_u32 v9, v3, s51
	v_mul_lo_u32 v10, v3, s42
	;; [unrolled: 1-line block ×3, first 2 shown]
	v_add3_u32 v2, v6, v2, v9
	v_add3_u32 v4, v8, v4, v10
	;; [unrolled: 1-line block ×3, first 2 shown]
	s_cbranch_scc0 .LBB11_21
; %bb.22:
	s_bitcmp1_b32 s15, 0
	s_cselect_b64 s[38:39], -1, 0
	s_and_b64 vcc, exec, s[38:39]
	s_cbranch_vccnz .LBB11_24
; %bb.23:
	s_load_dwordx2 s[38:39], s[36:37], 0x1c
	s_load_dword s8, s[36:37], 0x24
	s_load_dwordx2 s[42:43], s[36:37], 0xdc
	s_waitcnt lgkmcnt(0)
	v_mul_hi_u32 v3, s39, v1
	v_add_u32_e32 v3, v1, v3
	v_lshrrev_b32_e32 v3, s8, v3
	v_mul_lo_u32 v3, v3, s38
	s_load_dword s8, s[36:37], 0xe4
	v_sub_u32_e32 v1, v1, v3
	v_mad_u64_u32 v[2:3], s[36:37], v1, s42, v[2:3]
	v_mad_u64_u32 v[4:5], s[36:37], v1, s43, v[4:5]
	s_waitcnt lgkmcnt(0)
	v_mad_u64_u32 v[0:1], s[36:37], v1, s8, v[0:1]
.LBB11_24:
	s_cbranch_execz .LBB11_26
	s_branch .LBB11_28
.LBB11_25:
                                        ; implicit-def: $vgpr2
                                        ; implicit-def: $vgpr4
                                        ; implicit-def: $vgpr0
.LBB11_26:
	v_mul_hi_u32 v0, s10, v7
	s_andn2_b64 vcc, exec, s[28:29]
	v_add_u32_e32 v0, v7, v0
	v_lshrrev_b32_e32 v1, s11, v0
	v_mul_lo_u32 v0, v1, s9
	v_sub_u32_e32 v0, v7, v0
	v_mul_lo_u32 v2, v0, s24
	v_mul_lo_u32 v4, v0, s25
	;; [unrolled: 1-line block ×3, first 2 shown]
	s_cbranch_vccnz .LBB11_28
; %bb.27:
	v_mul_hi_u32 v3, s13, v1
	v_add_u32_e32 v3, v1, v3
	v_lshrrev_b32_e32 v3, s14, v3
	v_mul_lo_u32 v3, v3, s12
	v_sub_u32_e32 v1, v1, v3
	v_mad_u64_u32 v[2:3], s[36:37], v1, s27, v[2:3]
	v_mad_u64_u32 v[4:5], s[36:37], v1, s6, v[4:5]
	;; [unrolled: 1-line block ×3, first 2 shown]
.LBB11_28:
	s_andn2_b64 vcc, exec, s[4:5]
	s_cbranch_vccnz .LBB11_31
; %bb.29:
	s_waitcnt lgkmcnt(0)
	global_load_ushort v11, v2, s[20:21]
	v_mov_b32_e32 v3, s21
	v_add_co_u32_e32 v1, vcc, s20, v2
	v_addc_co_u32_e32 v2, vcc, 0, v3, vcc
	v_mov_b32_e32 v5, s23
	v_add_co_u32_e32 v3, vcc, s22, v4
	v_addc_co_u32_e32 v4, vcc, 0, v5, vcc
	s_ashr_i32 s19, s18, 31
	s_ashr_i32 s39, s17, 31
	s_mov_b32 s38, s17
	v_mov_b32_e32 v6, s3
	v_add_co_u32_e32 v5, vcc, s2, v0
	s_lshl_b64 s[36:37], s[18:19], 1
	s_lshl_b64 s[38:39], s[38:39], 1
	v_addc_co_u32_e32 v6, vcc, 0, v6, vcc
	s_movk_i32 s8, 0x7fff
	v_mov_b32_e32 v0, 0x7fc00000
	v_mov_b32_e32 v8, 0x7fc0
	;; [unrolled: 1-line block ×4, first 2 shown]
	s_mov_b32 s19, s16
.LBB11_30:                              ; =>This Inner Loop Header: Depth=1
	global_load_ushort v12, v[5:6], off
	global_load_ushort v13, v[3:4], off
	v_add_co_u32_e32 v5, vcc, s36, v5
	v_addc_co_u32_e32 v6, vcc, v6, v9, vcc
	v_add_co_u32_e32 v3, vcc, s38, v3
	v_addc_co_u32_e32 v4, vcc, v4, v10, vcc
	s_waitcnt vmcnt(2)
	v_lshlrev_b32_e32 v11, 16, v11
	s_add_i32 s19, s19, -1
	s_cmp_lg_u32 s19, 0
	s_waitcnt vmcnt(1)
	v_lshlrev_b32_e32 v12, 16, v12
	s_waitcnt vmcnt(0)
	v_lshlrev_b32_e32 v13, 16, v13
	v_mul_f32_e32 v12, v13, v12
	v_bfe_u32 v13, v12, 16, 1
	v_add3_u32 v13, v12, v13, s8
	v_and_b32_e32 v13, 0xffff0000, v13
	v_cmp_o_f32_e32 vcc, v12, v12
	v_cndmask_b32_e32 v12, v0, v13, vcc
	v_add_f32_e32 v11, v12, v11
	v_bfe_u32 v12, v11, 16, 1
	v_add3_u32 v12, v11, v12, s8
	v_lshrrev_b32_e32 v12, 16, v12
	v_cmp_o_f32_e32 vcc, v11, v11
	v_cndmask_b32_e32 v11, v8, v12, vcc
	global_store_short v[1:2], v11, off
	s_cbranch_scc1 .LBB11_30
.LBB11_31:
	v_add_u32_e32 v7, 0x100, v7
	s_or_b64 exec, exec, s[34:35]
	v_cmp_gt_i32_e32 vcc, s41, v7
	s_and_saveexec_b64 s[34:35], vcc
	s_cbranch_execz .LBB11_3
.LBB11_32:
	s_and_b64 vcc, exec, s[0:1]
	s_cbranch_vccnz .LBB11_39
; %bb.33:
	v_mov_b32_e32 v2, 0
	s_andn2_b64 vcc, exec, s[30:31]
	v_mov_b32_e32 v4, 0
	v_mov_b32_e32 v0, 0
	s_cbranch_vccnz .LBB11_38
; %bb.34:
	s_add_i32 s8, s15, 1
	s_and_b32 s8, s8, 30
	s_add_u32 s36, s33, 0xffffffe8
	s_addc_u32 s37, s40, -1
	v_mov_b32_e32 v0, 0
	v_mov_b32_e32 v4, 0
	;; [unrolled: 1-line block ×4, first 2 shown]
.LBB11_35:                              ; =>This Inner Loop Header: Depth=1
	s_load_dwordx4 s[44:47], s[36:37], 0x1c
	s_load_dwordx2 s[38:39], s[36:37], 0x2c
	s_load_dwordx2 s[42:43], s[36:37], 0xec
	s_load_dwordx4 s[48:51], s[36:37], 0xdc
	s_add_u32 s36, s36, 24
	s_waitcnt lgkmcnt(0)
	v_mul_hi_u32 v3, s45, v1
	s_addc_u32 s37, s37, 0
	s_add_i32 s8, s8, -2
	s_cmp_eq_u32 s8, 0
	v_add_u32_e32 v3, v1, v3
	v_lshrrev_b32_e32 v3, s46, v3
	v_mul_lo_u32 v5, v3, s44
	v_mul_hi_u32 v6, s38, v3
	v_sub_u32_e32 v5, v1, v5
	v_add_u32_e32 v1, v3, v6
	v_lshrrev_b32_e32 v1, s39, v1
	v_mul_lo_u32 v9, v1, s47
	v_mul_lo_u32 v6, v5, s48
	;; [unrolled: 1-line block ×4, first 2 shown]
	v_sub_u32_e32 v3, v3, v9
	v_mul_lo_u32 v9, v3, s51
	v_mul_lo_u32 v10, v3, s42
	v_mul_lo_u32 v3, v3, s43
	v_add3_u32 v2, v6, v2, v9
	v_add3_u32 v4, v8, v4, v10
	;; [unrolled: 1-line block ×3, first 2 shown]
	s_cbranch_scc0 .LBB11_35
; %bb.36:
	s_bitcmp1_b32 s15, 0
	s_cselect_b64 s[38:39], -1, 0
	s_and_b64 vcc, exec, s[38:39]
	s_cbranch_vccnz .LBB11_38
; %bb.37:
	s_load_dwordx2 s[38:39], s[36:37], 0x1c
	s_load_dword s8, s[36:37], 0x24
	s_load_dwordx2 s[42:43], s[36:37], 0xdc
	s_waitcnt lgkmcnt(0)
	v_mul_hi_u32 v3, s39, v1
	v_add_u32_e32 v3, v1, v3
	v_lshrrev_b32_e32 v3, s8, v3
	v_mul_lo_u32 v3, v3, s38
	s_load_dword s8, s[36:37], 0xe4
	v_sub_u32_e32 v1, v1, v3
	v_mad_u64_u32 v[2:3], s[36:37], v1, s42, v[2:3]
	v_mad_u64_u32 v[4:5], s[36:37], v1, s43, v[4:5]
	s_waitcnt lgkmcnt(0)
	v_mad_u64_u32 v[0:1], s[36:37], v1, s8, v[0:1]
.LBB11_38:
	s_cbranch_execz .LBB11_40
	s_branch .LBB11_42
.LBB11_39:
                                        ; implicit-def: $vgpr2
                                        ; implicit-def: $vgpr4
                                        ; implicit-def: $vgpr0
.LBB11_40:
	v_mul_hi_u32 v0, s10, v7
	s_andn2_b64 vcc, exec, s[28:29]
	v_add_u32_e32 v0, v7, v0
	v_lshrrev_b32_e32 v1, s11, v0
	v_mul_lo_u32 v0, v1, s9
	v_sub_u32_e32 v0, v7, v0
	v_mul_lo_u32 v2, v0, s24
	v_mul_lo_u32 v4, v0, s25
	;; [unrolled: 1-line block ×3, first 2 shown]
	s_cbranch_vccnz .LBB11_42
; %bb.41:
	v_mul_hi_u32 v3, s13, v1
	v_add_u32_e32 v3, v1, v3
	v_lshrrev_b32_e32 v3, s14, v3
	v_mul_lo_u32 v3, v3, s12
	v_sub_u32_e32 v1, v1, v3
	v_mad_u64_u32 v[2:3], s[36:37], v1, s27, v[2:3]
	v_mad_u64_u32 v[4:5], s[36:37], v1, s6, v[4:5]
	;; [unrolled: 1-line block ×3, first 2 shown]
.LBB11_42:
	s_andn2_b64 vcc, exec, s[4:5]
	s_cbranch_vccnz .LBB11_45
; %bb.43:
	s_waitcnt lgkmcnt(0)
	global_load_ushort v11, v2, s[20:21]
	v_mov_b32_e32 v3, s21
	v_add_co_u32_e32 v1, vcc, s20, v2
	v_addc_co_u32_e32 v2, vcc, 0, v3, vcc
	v_mov_b32_e32 v5, s23
	v_add_co_u32_e32 v3, vcc, s22, v4
	v_addc_co_u32_e32 v4, vcc, 0, v5, vcc
	s_ashr_i32 s19, s18, 31
	s_ashr_i32 s39, s17, 31
	s_mov_b32 s38, s17
	v_mov_b32_e32 v6, s3
	v_add_co_u32_e32 v5, vcc, s2, v0
	s_lshl_b64 s[36:37], s[18:19], 1
	s_lshl_b64 s[38:39], s[38:39], 1
	v_addc_co_u32_e32 v6, vcc, 0, v6, vcc
	s_movk_i32 s8, 0x7fff
	v_mov_b32_e32 v0, 0x7fc00000
	v_mov_b32_e32 v8, 0x7fc0
	;; [unrolled: 1-line block ×4, first 2 shown]
	s_mov_b32 s19, s16
.LBB11_44:                              ; =>This Inner Loop Header: Depth=1
	global_load_ushort v12, v[5:6], off
	global_load_ushort v13, v[3:4], off
	v_add_co_u32_e32 v5, vcc, s36, v5
	v_addc_co_u32_e32 v6, vcc, v6, v9, vcc
	v_add_co_u32_e32 v3, vcc, s38, v3
	v_addc_co_u32_e32 v4, vcc, v4, v10, vcc
	s_waitcnt vmcnt(2)
	v_lshlrev_b32_e32 v11, 16, v11
	s_add_i32 s19, s19, -1
	s_cmp_lg_u32 s19, 0
	s_waitcnt vmcnt(1)
	v_lshlrev_b32_e32 v12, 16, v12
	s_waitcnt vmcnt(0)
	v_lshlrev_b32_e32 v13, 16, v13
	v_mul_f32_e32 v12, v13, v12
	v_bfe_u32 v13, v12, 16, 1
	v_add3_u32 v13, v12, v13, s8
	v_and_b32_e32 v13, 0xffff0000, v13
	v_cmp_o_f32_e32 vcc, v12, v12
	v_cndmask_b32_e32 v12, v0, v13, vcc
	v_add_f32_e32 v11, v12, v11
	v_bfe_u32 v12, v11, 16, 1
	v_add3_u32 v12, v11, v12, s8
	v_lshrrev_b32_e32 v12, 16, v12
	v_cmp_o_f32_e32 vcc, v11, v11
	v_cndmask_b32_e32 v11, v8, v12, vcc
	global_store_short v[1:2], v11, off
	s_cbranch_scc1 .LBB11_44
.LBB11_45:
	v_add_u32_e32 v7, 0x100, v7
	s_or_b64 exec, exec, s[34:35]
	v_cmp_gt_i32_e32 vcc, s41, v7
	s_and_saveexec_b64 s[34:35], vcc
	s_cbranch_execz .LBB11_59
.LBB11_46:
	s_and_b64 vcc, exec, s[0:1]
	s_cbranch_vccnz .LBB11_53
; %bb.47:
	v_mov_b32_e32 v2, 0
	s_andn2_b64 vcc, exec, s[30:31]
	v_mov_b32_e32 v4, 0
	v_mov_b32_e32 v0, 0
	s_cbranch_vccnz .LBB11_52
; %bb.48:
	s_add_i32 s0, s15, 1
	s_and_b32 s8, s0, 30
	s_add_u32 s0, s33, 0xffffffe8
	s_addc_u32 s1, s40, -1
	v_mov_b32_e32 v0, 0
	v_mov_b32_e32 v4, 0
	;; [unrolled: 1-line block ×4, first 2 shown]
.LBB11_49:                              ; =>This Inner Loop Header: Depth=1
	s_load_dwordx4 s[36:39], s[0:1], 0x1c
	s_load_dwordx2 s[30:31], s[0:1], 0x2c
	s_load_dwordx2 s[34:35], s[0:1], 0xec
	s_load_dwordx4 s[40:43], s[0:1], 0xdc
	s_add_u32 s0, s0, 24
	s_waitcnt lgkmcnt(0)
	v_mul_hi_u32 v3, s37, v1
	s_addc_u32 s1, s1, 0
	s_add_i32 s8, s8, -2
	s_cmp_eq_u32 s8, 0
	v_add_u32_e32 v3, v1, v3
	v_lshrrev_b32_e32 v3, s38, v3
	v_mul_lo_u32 v5, v3, s36
	v_mul_hi_u32 v6, s30, v3
	v_sub_u32_e32 v5, v1, v5
	v_add_u32_e32 v1, v3, v6
	v_lshrrev_b32_e32 v1, s31, v1
	v_mul_lo_u32 v9, v1, s39
	v_mul_lo_u32 v6, v5, s40
	;; [unrolled: 1-line block ×4, first 2 shown]
	v_sub_u32_e32 v3, v3, v9
	v_mul_lo_u32 v9, v3, s43
	v_mul_lo_u32 v10, v3, s34
	;; [unrolled: 1-line block ×3, first 2 shown]
	v_add3_u32 v2, v6, v2, v9
	v_add3_u32 v4, v8, v4, v10
	;; [unrolled: 1-line block ×3, first 2 shown]
	s_cbranch_scc0 .LBB11_49
; %bb.50:
	s_bitcmp1_b32 s15, 0
	s_cselect_b64 s[30:31], -1, 0
	s_and_b64 vcc, exec, s[30:31]
	s_cbranch_vccnz .LBB11_52
; %bb.51:
	s_load_dwordx2 s[30:31], s[0:1], 0x1c
	s_load_dword s8, s[0:1], 0x24
	s_load_dwordx2 s[34:35], s[0:1], 0xdc
	s_waitcnt lgkmcnt(0)
	v_mul_hi_u32 v3, s31, v1
	v_add_u32_e32 v3, v1, v3
	v_lshrrev_b32_e32 v3, s8, v3
	v_mul_lo_u32 v3, v3, s30
	s_load_dword s8, s[0:1], 0xe4
	v_sub_u32_e32 v1, v1, v3
	v_mad_u64_u32 v[2:3], s[0:1], v1, s34, v[2:3]
	v_mad_u64_u32 v[4:5], s[0:1], v1, s35, v[4:5]
	s_waitcnt lgkmcnt(0)
	v_mad_u64_u32 v[0:1], s[0:1], v1, s8, v[0:1]
.LBB11_52:
	s_cbranch_execz .LBB11_54
	s_branch .LBB11_56
.LBB11_53:
                                        ; implicit-def: $vgpr2
                                        ; implicit-def: $vgpr4
                                        ; implicit-def: $vgpr0
.LBB11_54:
	v_mul_hi_u32 v0, s10, v7
	s_andn2_b64 vcc, exec, s[28:29]
	v_add_u32_e32 v0, v7, v0
	v_lshrrev_b32_e32 v1, s11, v0
	v_mul_lo_u32 v0, v1, s9
	v_sub_u32_e32 v0, v7, v0
	v_mul_lo_u32 v2, v0, s24
	v_mul_lo_u32 v4, v0, s25
	;; [unrolled: 1-line block ×3, first 2 shown]
	s_cbranch_vccnz .LBB11_56
; %bb.55:
	v_mul_hi_u32 v3, s13, v1
	v_add_u32_e32 v3, v1, v3
	v_lshrrev_b32_e32 v3, s14, v3
	v_mul_lo_u32 v3, v3, s12
	v_sub_u32_e32 v1, v1, v3
	v_mad_u64_u32 v[2:3], s[0:1], v1, s27, v[2:3]
	v_mad_u64_u32 v[4:5], s[0:1], v1, s6, v[4:5]
	;; [unrolled: 1-line block ×3, first 2 shown]
.LBB11_56:
	s_andn2_b64 vcc, exec, s[4:5]
	s_cbranch_vccnz .LBB11_59
; %bb.57:
	s_waitcnt lgkmcnt(0)
	global_load_ushort v10, v2, s[20:21]
	v_mov_b32_e32 v3, s21
	v_add_co_u32_e32 v1, vcc, s20, v2
	v_addc_co_u32_e32 v2, vcc, 0, v3, vcc
	v_mov_b32_e32 v5, s23
	v_add_co_u32_e32 v3, vcc, s22, v4
	v_addc_co_u32_e32 v4, vcc, 0, v5, vcc
	v_mov_b32_e32 v6, s3
	v_add_co_u32_e32 v5, vcc, s2, v0
	s_ashr_i32 s19, s18, 31
	s_ashr_i32 s3, s17, 31
	s_mov_b32 s2, s17
	s_lshl_b64 s[0:1], s[18:19], 1
	s_lshl_b64 s[2:3], s[2:3], 1
	v_addc_co_u32_e32 v6, vcc, 0, v6, vcc
	s_movk_i32 s4, 0x7fff
	v_mov_b32_e32 v0, 0x7fc00000
	v_mov_b32_e32 v7, 0x7fc0
	;; [unrolled: 1-line block ×4, first 2 shown]
.LBB11_58:                              ; =>This Inner Loop Header: Depth=1
	global_load_ushort v11, v[5:6], off
	global_load_ushort v12, v[3:4], off
	v_add_co_u32_e32 v5, vcc, s0, v5
	v_addc_co_u32_e32 v6, vcc, v6, v8, vcc
	v_add_co_u32_e32 v3, vcc, s2, v3
	v_addc_co_u32_e32 v4, vcc, v4, v9, vcc
	s_waitcnt vmcnt(2)
	v_lshlrev_b32_e32 v10, 16, v10
	s_add_i32 s16, s16, -1
	s_cmp_lg_u32 s16, 0
	s_waitcnt vmcnt(1)
	v_lshlrev_b32_e32 v11, 16, v11
	s_waitcnt vmcnt(0)
	v_lshlrev_b32_e32 v12, 16, v12
	v_mul_f32_e32 v11, v12, v11
	v_bfe_u32 v12, v11, 16, 1
	v_add3_u32 v12, v11, v12, s4
	v_and_b32_e32 v12, 0xffff0000, v12
	v_cmp_o_f32_e32 vcc, v11, v11
	v_cndmask_b32_e32 v11, v0, v12, vcc
	v_add_f32_e32 v10, v11, v10
	v_bfe_u32 v11, v10, 16, 1
	v_add3_u32 v11, v10, v11, s4
	v_lshrrev_b32_e32 v11, 16, v11
	v_cmp_o_f32_e32 vcc, v10, v10
	v_cndmask_b32_e32 v10, v7, v11, vcc
	global_store_short v[1:2], v10, off
	s_cbranch_scc1 .LBB11_58
.LBB11_59:
	s_endpgm
	.section	.rodata,"a",@progbits
	.p2align	6, 0x0
	.amdhsa_kernel _ZN2at6native12_GLOBAL__N_116_elemwise_kernelILi256ELi4EZNS1_43_compute_linear_combination_internal_kernelIN3c108BFloat16EEEvRNS_14TensorIteratorEiiiEUliE_EEviT1_
		.amdhsa_group_segment_fixed_size 0
		.amdhsa_private_segment_fixed_size 0
		.amdhsa_kernarg_size 440
		.amdhsa_user_sgpr_count 6
		.amdhsa_user_sgpr_private_segment_buffer 1
		.amdhsa_user_sgpr_dispatch_ptr 0
		.amdhsa_user_sgpr_queue_ptr 0
		.amdhsa_user_sgpr_kernarg_segment_ptr 1
		.amdhsa_user_sgpr_dispatch_id 0
		.amdhsa_user_sgpr_flat_scratch_init 0
		.amdhsa_user_sgpr_private_segment_size 0
		.amdhsa_uses_dynamic_stack 0
		.amdhsa_system_sgpr_private_segment_wavefront_offset 0
		.amdhsa_system_sgpr_workgroup_id_x 1
		.amdhsa_system_sgpr_workgroup_id_y 0
		.amdhsa_system_sgpr_workgroup_id_z 0
		.amdhsa_system_sgpr_workgroup_info 0
		.amdhsa_system_vgpr_workitem_id 0
		.amdhsa_next_free_vgpr 14
		.amdhsa_next_free_sgpr 52
		.amdhsa_reserve_vcc 1
		.amdhsa_reserve_flat_scratch 0
		.amdhsa_float_round_mode_32 0
		.amdhsa_float_round_mode_16_64 0
		.amdhsa_float_denorm_mode_32 3
		.amdhsa_float_denorm_mode_16_64 3
		.amdhsa_dx10_clamp 1
		.amdhsa_ieee_mode 1
		.amdhsa_fp16_overflow 0
		.amdhsa_exception_fp_ieee_invalid_op 0
		.amdhsa_exception_fp_denorm_src 0
		.amdhsa_exception_fp_ieee_div_zero 0
		.amdhsa_exception_fp_ieee_overflow 0
		.amdhsa_exception_fp_ieee_underflow 0
		.amdhsa_exception_fp_ieee_inexact 0
		.amdhsa_exception_int_div_zero 0
	.end_amdhsa_kernel
	.section	.text._ZN2at6native12_GLOBAL__N_116_elemwise_kernelILi256ELi4EZNS1_43_compute_linear_combination_internal_kernelIN3c108BFloat16EEEvRNS_14TensorIteratorEiiiEUliE_EEviT1_,"axG",@progbits,_ZN2at6native12_GLOBAL__N_116_elemwise_kernelILi256ELi4EZNS1_43_compute_linear_combination_internal_kernelIN3c108BFloat16EEEvRNS_14TensorIteratorEiiiEUliE_EEviT1_,comdat
.Lfunc_end11:
	.size	_ZN2at6native12_GLOBAL__N_116_elemwise_kernelILi256ELi4EZNS1_43_compute_linear_combination_internal_kernelIN3c108BFloat16EEEvRNS_14TensorIteratorEiiiEUliE_EEviT1_, .Lfunc_end11-_ZN2at6native12_GLOBAL__N_116_elemwise_kernelILi256ELi4EZNS1_43_compute_linear_combination_internal_kernelIN3c108BFloat16EEEvRNS_14TensorIteratorEiiiEUliE_EEviT1_
                                        ; -- End function
	.set _ZN2at6native12_GLOBAL__N_116_elemwise_kernelILi256ELi4EZNS1_43_compute_linear_combination_internal_kernelIN3c108BFloat16EEEvRNS_14TensorIteratorEiiiEUliE_EEviT1_.num_vgpr, 14
	.set _ZN2at6native12_GLOBAL__N_116_elemwise_kernelILi256ELi4EZNS1_43_compute_linear_combination_internal_kernelIN3c108BFloat16EEEvRNS_14TensorIteratorEiiiEUliE_EEviT1_.num_agpr, 0
	.set _ZN2at6native12_GLOBAL__N_116_elemwise_kernelILi256ELi4EZNS1_43_compute_linear_combination_internal_kernelIN3c108BFloat16EEEvRNS_14TensorIteratorEiiiEUliE_EEviT1_.numbered_sgpr, 52
	.set _ZN2at6native12_GLOBAL__N_116_elemwise_kernelILi256ELi4EZNS1_43_compute_linear_combination_internal_kernelIN3c108BFloat16EEEvRNS_14TensorIteratorEiiiEUliE_EEviT1_.num_named_barrier, 0
	.set _ZN2at6native12_GLOBAL__N_116_elemwise_kernelILi256ELi4EZNS1_43_compute_linear_combination_internal_kernelIN3c108BFloat16EEEvRNS_14TensorIteratorEiiiEUliE_EEviT1_.private_seg_size, 0
	.set _ZN2at6native12_GLOBAL__N_116_elemwise_kernelILi256ELi4EZNS1_43_compute_linear_combination_internal_kernelIN3c108BFloat16EEEvRNS_14TensorIteratorEiiiEUliE_EEviT1_.uses_vcc, 1
	.set _ZN2at6native12_GLOBAL__N_116_elemwise_kernelILi256ELi4EZNS1_43_compute_linear_combination_internal_kernelIN3c108BFloat16EEEvRNS_14TensorIteratorEiiiEUliE_EEviT1_.uses_flat_scratch, 0
	.set _ZN2at6native12_GLOBAL__N_116_elemwise_kernelILi256ELi4EZNS1_43_compute_linear_combination_internal_kernelIN3c108BFloat16EEEvRNS_14TensorIteratorEiiiEUliE_EEviT1_.has_dyn_sized_stack, 0
	.set _ZN2at6native12_GLOBAL__N_116_elemwise_kernelILi256ELi4EZNS1_43_compute_linear_combination_internal_kernelIN3c108BFloat16EEEvRNS_14TensorIteratorEiiiEUliE_EEviT1_.has_recursion, 0
	.set _ZN2at6native12_GLOBAL__N_116_elemwise_kernelILi256ELi4EZNS1_43_compute_linear_combination_internal_kernelIN3c108BFloat16EEEvRNS_14TensorIteratorEiiiEUliE_EEviT1_.has_indirect_call, 0
	.section	.AMDGPU.csdata,"",@progbits
; Kernel info:
; codeLenInByte = 3192
; TotalNumSgprs: 56
; NumVgprs: 14
; ScratchSize: 0
; MemoryBound: 0
; FloatMode: 240
; IeeeMode: 1
; LDSByteSize: 0 bytes/workgroup (compile time only)
; SGPRBlocks: 6
; VGPRBlocks: 3
; NumSGPRsForWavesPerEU: 56
; NumVGPRsForWavesPerEU: 14
; Occupancy: 10
; WaveLimiterHint : 1
; COMPUTE_PGM_RSRC2:SCRATCH_EN: 0
; COMPUTE_PGM_RSRC2:USER_SGPR: 6
; COMPUTE_PGM_RSRC2:TRAP_HANDLER: 0
; COMPUTE_PGM_RSRC2:TGID_X_EN: 1
; COMPUTE_PGM_RSRC2:TGID_Y_EN: 0
; COMPUTE_PGM_RSRC2:TGID_Z_EN: 0
; COMPUTE_PGM_RSRC2:TIDIG_COMP_CNT: 0
	.section	.AMDGPU.gpr_maximums,"",@progbits
	.set amdgpu.max_num_vgpr, 0
	.set amdgpu.max_num_agpr, 0
	.set amdgpu.max_num_sgpr, 0
	.section	.AMDGPU.csdata,"",@progbits
	.type	__hip_cuid_48b827deed80fd80,@object ; @__hip_cuid_48b827deed80fd80
	.section	.bss,"aw",@nobits
	.globl	__hip_cuid_48b827deed80fd80
__hip_cuid_48b827deed80fd80:
	.byte	0                               ; 0x0
	.size	__hip_cuid_48b827deed80fd80, 1

	.ident	"AMD clang version 22.0.0git (https://github.com/RadeonOpenCompute/llvm-project roc-7.2.4 26084 f58b06dce1f9c15707c5f808fd002e18c2accf7e)"
	.section	".note.GNU-stack","",@progbits
	.addrsig
	.addrsig_sym __hip_cuid_48b827deed80fd80
	.amdgpu_metadata
---
amdhsa.kernels:
  - .args:
      - .offset:         0
        .size:           4
        .value_kind:     by_value
      - .offset:         8
        .size:           432
        .value_kind:     by_value
    .group_segment_fixed_size: 0
    .kernarg_segment_align: 8
    .kernarg_segment_size: 440
    .language:       OpenCL C
    .language_version:
      - 2
      - 0
    .max_flat_workgroup_size: 256
    .name:           _ZN2at6native12_GLOBAL__N_116_elemwise_kernelILi256ELi4EZNS1_43_compute_linear_combination_internal_kernelIhEEvRNS_14TensorIteratorEiiiEUliE_EEviT1_
    .private_segment_fixed_size: 0
    .sgpr_count:     56
    .sgpr_spill_count: 0
    .symbol:         _ZN2at6native12_GLOBAL__N_116_elemwise_kernelILi256ELi4EZNS1_43_compute_linear_combination_internal_kernelIhEEvRNS_14TensorIteratorEiiiEUliE_EEviT1_.kd
    .uniform_work_group_size: 1
    .uses_dynamic_stack: false
    .vgpr_count:     12
    .vgpr_spill_count: 0
    .wavefront_size: 64
  - .args:
      - .offset:         0
        .size:           4
        .value_kind:     by_value
      - .offset:         8
        .size:           432
        .value_kind:     by_value
    .group_segment_fixed_size: 0
    .kernarg_segment_align: 8
    .kernarg_segment_size: 440
    .language:       OpenCL C
    .language_version:
      - 2
      - 0
    .max_flat_workgroup_size: 256
    .name:           _ZN2at6native12_GLOBAL__N_116_elemwise_kernelILi256ELi4EZNS1_43_compute_linear_combination_internal_kernelIaEEvRNS_14TensorIteratorEiiiEUliE_EEviT1_
    .private_segment_fixed_size: 0
    .sgpr_count:     56
    .sgpr_spill_count: 0
    .symbol:         _ZN2at6native12_GLOBAL__N_116_elemwise_kernelILi256ELi4EZNS1_43_compute_linear_combination_internal_kernelIaEEvRNS_14TensorIteratorEiiiEUliE_EEviT1_.kd
    .uniform_work_group_size: 1
    .uses_dynamic_stack: false
    .vgpr_count:     12
    .vgpr_spill_count: 0
    .wavefront_size: 64
  - .args:
      - .offset:         0
        .size:           4
        .value_kind:     by_value
      - .offset:         8
        .size:           432
        .value_kind:     by_value
    .group_segment_fixed_size: 0
    .kernarg_segment_align: 8
    .kernarg_segment_size: 440
    .language:       OpenCL C
    .language_version:
      - 2
      - 0
    .max_flat_workgroup_size: 256
    .name:           _ZN2at6native12_GLOBAL__N_116_elemwise_kernelILi256ELi4EZNS1_43_compute_linear_combination_internal_kernelIiEEvRNS_14TensorIteratorEiiiEUliE_EEviT1_
    .private_segment_fixed_size: 0
    .sgpr_count:     56
    .sgpr_spill_count: 0
    .symbol:         _ZN2at6native12_GLOBAL__N_116_elemwise_kernelILi256ELi4EZNS1_43_compute_linear_combination_internal_kernelIiEEvRNS_14TensorIteratorEiiiEUliE_EEviT1_.kd
    .uniform_work_group_size: 1
    .uses_dynamic_stack: false
    .vgpr_count:     12
    .vgpr_spill_count: 0
    .wavefront_size: 64
  - .args:
      - .offset:         0
        .size:           4
        .value_kind:     by_value
      - .offset:         8
        .size:           432
        .value_kind:     by_value
    .group_segment_fixed_size: 0
    .kernarg_segment_align: 8
    .kernarg_segment_size: 440
    .language:       OpenCL C
    .language_version:
      - 2
      - 0
    .max_flat_workgroup_size: 256
    .name:           _ZN2at6native12_GLOBAL__N_116_elemwise_kernelILi256ELi4EZNS1_43_compute_linear_combination_internal_kernelIlEEvRNS_14TensorIteratorEiiiEUliE_EEviT1_
    .private_segment_fixed_size: 0
    .sgpr_count:     56
    .sgpr_spill_count: 0
    .symbol:         _ZN2at6native12_GLOBAL__N_116_elemwise_kernelILi256ELi4EZNS1_43_compute_linear_combination_internal_kernelIlEEvRNS_14TensorIteratorEiiiEUliE_EEviT1_.kd
    .uniform_work_group_size: 1
    .uses_dynamic_stack: false
    .vgpr_count:     15
    .vgpr_spill_count: 0
    .wavefront_size: 64
  - .args:
      - .offset:         0
        .size:           4
        .value_kind:     by_value
      - .offset:         8
        .size:           432
        .value_kind:     by_value
    .group_segment_fixed_size: 0
    .kernarg_segment_align: 8
    .kernarg_segment_size: 440
    .language:       OpenCL C
    .language_version:
      - 2
      - 0
    .max_flat_workgroup_size: 256
    .name:           _ZN2at6native12_GLOBAL__N_116_elemwise_kernelILi256ELi4EZNS1_43_compute_linear_combination_internal_kernelIsEEvRNS_14TensorIteratorEiiiEUliE_EEviT1_
    .private_segment_fixed_size: 0
    .sgpr_count:     56
    .sgpr_spill_count: 0
    .symbol:         _ZN2at6native12_GLOBAL__N_116_elemwise_kernelILi256ELi4EZNS1_43_compute_linear_combination_internal_kernelIsEEvRNS_14TensorIteratorEiiiEUliE_EEviT1_.kd
    .uniform_work_group_size: 1
    .uses_dynamic_stack: false
    .vgpr_count:     12
    .vgpr_spill_count: 0
    .wavefront_size: 64
  - .args:
      - .offset:         0
        .size:           4
        .value_kind:     by_value
      - .offset:         8
        .size:           432
        .value_kind:     by_value
    .group_segment_fixed_size: 0
    .kernarg_segment_align: 8
    .kernarg_segment_size: 440
    .language:       OpenCL C
    .language_version:
      - 2
      - 0
    .max_flat_workgroup_size: 256
    .name:           _ZN2at6native12_GLOBAL__N_116_elemwise_kernelILi256ELi4EZNS1_43_compute_linear_combination_internal_kernelIdEEvRNS_14TensorIteratorEiiiEUliE_EEviT1_
    .private_segment_fixed_size: 0
    .sgpr_count:     56
    .sgpr_spill_count: 0
    .symbol:         _ZN2at6native12_GLOBAL__N_116_elemwise_kernelILi256ELi4EZNS1_43_compute_linear_combination_internal_kernelIdEEvRNS_14TensorIteratorEiiiEUliE_EEviT1_.kd
    .uniform_work_group_size: 1
    .uses_dynamic_stack: false
    .vgpr_count:     15
    .vgpr_spill_count: 0
    .wavefront_size: 64
  - .args:
      - .offset:         0
        .size:           4
        .value_kind:     by_value
      - .offset:         8
        .size:           432
        .value_kind:     by_value
    .group_segment_fixed_size: 0
    .kernarg_segment_align: 8
    .kernarg_segment_size: 440
    .language:       OpenCL C
    .language_version:
      - 2
      - 0
    .max_flat_workgroup_size: 256
    .name:           _ZN2at6native12_GLOBAL__N_116_elemwise_kernelILi256ELi4EZNS1_43_compute_linear_combination_internal_kernelIfEEvRNS_14TensorIteratorEiiiEUliE_EEviT1_
    .private_segment_fixed_size: 0
    .sgpr_count:     56
    .sgpr_spill_count: 0
    .symbol:         _ZN2at6native12_GLOBAL__N_116_elemwise_kernelILi256ELi4EZNS1_43_compute_linear_combination_internal_kernelIfEEvRNS_14TensorIteratorEiiiEUliE_EEviT1_.kd
    .uniform_work_group_size: 1
    .uses_dynamic_stack: false
    .vgpr_count:     12
    .vgpr_spill_count: 0
    .wavefront_size: 64
  - .args:
      - .offset:         0
        .size:           4
        .value_kind:     by_value
      - .offset:         8
        .size:           432
        .value_kind:     by_value
    .group_segment_fixed_size: 0
    .kernarg_segment_align: 8
    .kernarg_segment_size: 440
    .language:       OpenCL C
    .language_version:
      - 2
      - 0
    .max_flat_workgroup_size: 256
    .name:           _ZN2at6native12_GLOBAL__N_116_elemwise_kernelILi256ELi4EZNS1_43_compute_linear_combination_internal_kernelIN3c107complexIdEEEEvRNS_14TensorIteratorEiiiEUliE_EEviT1_
    .private_segment_fixed_size: 0
    .sgpr_count:     56
    .sgpr_spill_count: 0
    .symbol:         _ZN2at6native12_GLOBAL__N_116_elemwise_kernelILi256ELi4EZNS1_43_compute_linear_combination_internal_kernelIN3c107complexIdEEEEvRNS_14TensorIteratorEiiiEUliE_EEviT1_.kd
    .uniform_work_group_size: 1
    .uses_dynamic_stack: false
    .vgpr_count:     19
    .vgpr_spill_count: 0
    .wavefront_size: 64
  - .args:
      - .offset:         0
        .size:           4
        .value_kind:     by_value
      - .offset:         8
        .size:           432
        .value_kind:     by_value
    .group_segment_fixed_size: 0
    .kernarg_segment_align: 8
    .kernarg_segment_size: 440
    .language:       OpenCL C
    .language_version:
      - 2
      - 0
    .max_flat_workgroup_size: 256
    .name:           _ZN2at6native12_GLOBAL__N_116_elemwise_kernelILi256ELi4EZNS1_43_compute_linear_combination_internal_kernelIN3c107complexIfEEEEvRNS_14TensorIteratorEiiiEUliE_EEviT1_
    .private_segment_fixed_size: 0
    .sgpr_count:     56
    .sgpr_spill_count: 0
    .symbol:         _ZN2at6native12_GLOBAL__N_116_elemwise_kernelILi256ELi4EZNS1_43_compute_linear_combination_internal_kernelIN3c107complexIfEEEEvRNS_14TensorIteratorEiiiEUliE_EEviT1_.kd
    .uniform_work_group_size: 1
    .uses_dynamic_stack: false
    .vgpr_count:     14
    .vgpr_spill_count: 0
    .wavefront_size: 64
  - .args:
      - .offset:         0
        .size:           4
        .value_kind:     by_value
      - .offset:         8
        .size:           432
        .value_kind:     by_value
    .group_segment_fixed_size: 0
    .kernarg_segment_align: 8
    .kernarg_segment_size: 440
    .language:       OpenCL C
    .language_version:
      - 2
      - 0
    .max_flat_workgroup_size: 256
    .name:           _ZN2at6native12_GLOBAL__N_116_elemwise_kernelILi256ELi4EZNS1_43_compute_linear_combination_internal_kernelIN3c104HalfEEEvRNS_14TensorIteratorEiiiEUliE_EEviT1_
    .private_segment_fixed_size: 0
    .sgpr_count:     56
    .sgpr_spill_count: 0
    .symbol:         _ZN2at6native12_GLOBAL__N_116_elemwise_kernelILi256ELi4EZNS1_43_compute_linear_combination_internal_kernelIN3c104HalfEEEvRNS_14TensorIteratorEiiiEUliE_EEviT1_.kd
    .uniform_work_group_size: 1
    .uses_dynamic_stack: false
    .vgpr_count:     12
    .vgpr_spill_count: 0
    .wavefront_size: 64
  - .args:
      - .offset:         0
        .size:           4
        .value_kind:     by_value
      - .offset:         8
        .size:           432
        .value_kind:     by_value
    .group_segment_fixed_size: 0
    .kernarg_segment_align: 8
    .kernarg_segment_size: 440
    .language:       OpenCL C
    .language_version:
      - 2
      - 0
    .max_flat_workgroup_size: 256
    .name:           _ZN2at6native12_GLOBAL__N_116_elemwise_kernelILi256ELi4EZNS1_43_compute_linear_combination_internal_kernelIbEEvRNS_14TensorIteratorEiiiEUliE_EEviT1_
    .private_segment_fixed_size: 0
    .sgpr_count:     56
    .sgpr_spill_count: 0
    .symbol:         _ZN2at6native12_GLOBAL__N_116_elemwise_kernelILi256ELi4EZNS1_43_compute_linear_combination_internal_kernelIbEEvRNS_14TensorIteratorEiiiEUliE_EEviT1_.kd
    .uniform_work_group_size: 1
    .uses_dynamic_stack: false
    .vgpr_count:     12
    .vgpr_spill_count: 0
    .wavefront_size: 64
  - .args:
      - .offset:         0
        .size:           4
        .value_kind:     by_value
      - .offset:         8
        .size:           432
        .value_kind:     by_value
    .group_segment_fixed_size: 0
    .kernarg_segment_align: 8
    .kernarg_segment_size: 440
    .language:       OpenCL C
    .language_version:
      - 2
      - 0
    .max_flat_workgroup_size: 256
    .name:           _ZN2at6native12_GLOBAL__N_116_elemwise_kernelILi256ELi4EZNS1_43_compute_linear_combination_internal_kernelIN3c108BFloat16EEEvRNS_14TensorIteratorEiiiEUliE_EEviT1_
    .private_segment_fixed_size: 0
    .sgpr_count:     56
    .sgpr_spill_count: 0
    .symbol:         _ZN2at6native12_GLOBAL__N_116_elemwise_kernelILi256ELi4EZNS1_43_compute_linear_combination_internal_kernelIN3c108BFloat16EEEvRNS_14TensorIteratorEiiiEUliE_EEviT1_.kd
    .uniform_work_group_size: 1
    .uses_dynamic_stack: false
    .vgpr_count:     14
    .vgpr_spill_count: 0
    .wavefront_size: 64
amdhsa.target:   amdgcn-amd-amdhsa--gfx906
amdhsa.version:
  - 1
  - 2
...

	.end_amdgpu_metadata
